;; amdgpu-corpus repo=ROCm/rocFFT kind=compiled arch=gfx950 opt=O3
	.text
	.amdgcn_target "amdgcn-amd-amdhsa--gfx950"
	.amdhsa_code_object_version 6
	.protected	bluestein_single_back_len1890_dim1_dp_op_CI_CI ; -- Begin function bluestein_single_back_len1890_dim1_dp_op_CI_CI
	.globl	bluestein_single_back_len1890_dim1_dp_op_CI_CI
	.p2align	8
	.type	bluestein_single_back_len1890_dim1_dp_op_CI_CI,@function
bluestein_single_back_len1890_dim1_dp_op_CI_CI: ; @bluestein_single_back_len1890_dim1_dp_op_CI_CI
; %bb.0:
	s_load_dwordx4 s[8:11], s[0:1], 0x28
	v_mul_u32_u24_e32 v1, 0x209, v0
	v_mov_b32_e32 v247, 0
	v_add_u32_sdwa v6, s2, v1 dst_sel:DWORD dst_unused:UNUSED_PAD src0_sel:DWORD src1_sel:WORD_1
	v_mov_b32_e32 v7, v247
	s_waitcnt lgkmcnt(0)
	v_cmp_gt_u64_e32 vcc, s[8:9], v[6:7]
	s_and_saveexec_b64 s[2:3], vcc
	s_cbranch_execz .LBB0_23
; %bb.1:
	s_load_dwordx4 s[4:7], s[0:1], 0x18
	s_load_dwordx2 s[14:15], s[0:1], 0x0
	v_mov_b32_e32 v2, s10
	v_mov_b32_e32 v3, s11
	s_movk_i32 s2, 0x7e
	s_waitcnt lgkmcnt(0)
	s_load_dwordx4 s[8:11], s[4:5], 0x0
	v_mul_lo_u16_sdwa v1, v1, s2 dst_sel:DWORD dst_unused:UNUSED_PAD src0_sel:WORD_1 src1_sel:DWORD
	v_sub_u16_e32 v246, v0, v1
	v_accvgpr_write_b32 a50, v6
	v_lshlrev_b32_e32 v94, 4, v246
	s_waitcnt lgkmcnt(0)
	v_mad_u64_u32 v[0:1], s[2:3], s10, v6, 0
	v_mov_b32_e32 v4, v1
	v_mad_u64_u32 v[4:5], s[2:3], s11, v6, v[4:5]
	v_mov_b32_e32 v1, v4
	v_mad_u64_u32 v[4:5], s[2:3], s8, v246, 0
	v_mov_b32_e32 v6, v5
	v_mad_u64_u32 v[6:7], s[2:3], s9, v246, v[6:7]
	s_mul_i32 s2, s9, 0x3b1
	s_mul_hi_u32 s3, s8, 0x3b1
	v_mov_b32_e32 v5, v6
	v_lshl_add_u64 v[0:1], v[0:1], 4, v[2:3]
	v_mov_b32_e32 v95, v247
	s_add_i32 s3, s3, s2
	s_mul_i32 s2, s8, 0x3b1
	v_lshl_add_u64 v[8:9], v[4:5], 4, v[0:1]
	v_lshl_add_u64 v[92:93], s[14:15], 0, v[94:95]
	s_lshl_b64 s[4:5], s[2:3], 4
	s_movk_i32 s10, 0x3000
	v_lshl_add_u64 v[10:11], v[8:9], 0, s[4:5]
	global_load_dwordx4 v[4:7], v[8:9], off
	global_load_dwordx4 v[0:3], v[10:11], off
	v_add_co_u32_e32 v8, vcc, s10, v92
	s_mul_hi_u32 s10, s8, 0xfffffccd
	global_load_dwordx4 v[120:123], v94, s[14:15]
	global_load_dwordx4 v[66:69], v94, s[14:15] offset:2016
	v_addc_co_u32_e32 v9, vcc, 0, v93, vcc
	s_mulk_i32 s9, 0xfccd
	s_sub_i32 s10, s10, s8
	global_load_dwordx4 v[62:65], v[8:9], off offset:2832
	s_add_i32 s17, s10, s9
	s_mul_i32 s16, s8, 0xfffffccd
	s_lshl_b64 s[8:9], s[16:17], 4
	v_lshl_add_u64 v[16:17], v[10:11], 0, s[8:9]
	v_lshl_add_u64 v[18:19], v[16:17], 0, s[4:5]
	global_load_dwordx4 v[12:15], v[16:17], off
	global_load_dwordx4 v[8:11], v[18:19], off
	s_movk_i32 s10, 0x4000
	v_add_co_u32_e32 v24, vcc, s10, v92
	v_lshl_add_u64 v[20:21], v[18:19], 0, s[8:9]
	s_nop 0
	v_addc_co_u32_e32 v25, vcc, 0, v93, vcc
	global_load_dwordx4 v[16:19], v[20:21], off
	global_load_dwordx4 v[70:73], v94, s[14:15] offset:4032
	v_lshl_add_u64 v[26:27], v[20:21], 0, s[4:5]
	global_load_dwordx4 v[78:81], v[24:25], off offset:752
	global_load_dwordx4 v[20:23], v[26:27], off
	global_load_dwordx4 v[74:77], v[24:25], off offset:2768
	s_movk_i32 s10, 0x1000
	v_add_co_u32_e32 v38, vcc, s10, v92
	v_lshl_add_u64 v[24:25], v[26:27], 0, s[8:9]
	s_nop 0
	v_addc_co_u32_e32 v39, vcc, 0, v93, vcc
	s_movk_i32 s10, 0x5000
	global_load_dwordx4 v[26:29], v[24:25], off
	global_load_dwordx4 v[82:85], v[38:39], off offset:1952
	v_add_co_u32_e32 v42, vcc, s10, v92
	v_lshl_add_u64 v[24:25], v[24:25], 0, s[4:5]
	s_nop 0
	v_addc_co_u32_e32 v43, vcc, 0, v93, vcc
	global_load_dwordx4 v[86:89], v[42:43], off offset:688
	global_load_dwordx4 v[30:33], v[24:25], off
	v_lshl_add_u64 v[24:25], v[24:25], 0, s[8:9]
	global_load_dwordx4 v[34:37], v[24:25], off
	global_load_dwordx4 v[96:99], v[38:39], off offset:3968
	v_lshl_add_u64 v[24:25], v[24:25], 0, s[4:5]
	s_movk_i32 s10, 0x2000
	global_load_dwordx4 v[38:41], v[24:25], off
	global_load_dwordx4 v[100:103], v[42:43], off offset:2704
	v_add_co_u32_e32 v54, vcc, s10, v92
	v_lshl_add_u64 v[24:25], v[24:25], 0, s[8:9]
	s_nop 0
	v_addc_co_u32_e32 v55, vcc, 0, v93, vcc
	s_movk_i32 s10, 0x6000
	global_load_dwordx4 v[42:45], v[24:25], off
	global_load_dwordx4 v[104:107], v[54:55], off offset:1888
	v_add_co_u32_e32 v58, vcc, s10, v92
	v_lshl_add_u64 v[24:25], v[24:25], 0, s[4:5]
	s_nop 0
	v_addc_co_u32_e32 v59, vcc, 0, v93, vcc
	global_load_dwordx4 v[108:111], v[58:59], off offset:624
	global_load_dwordx4 v[46:49], v[24:25], off
	v_lshl_add_u64 v[24:25], v[24:25], 0, s[8:9]
	global_load_dwordx4 v[50:53], v[24:25], off
	global_load_dwordx4 v[112:115], v[54:55], off offset:3904
	v_lshl_add_u64 v[24:25], v[24:25], 0, s[4:5]
	global_load_dwordx4 v[54:57], v[24:25], off
	global_load_dwordx4 v[116:119], v[58:59], off offset:2640
	s_load_dwordx2 s[12:13], s[0:1], 0x38
	s_load_dwordx4 s[8:11], s[6:7], 0x0
	v_cmp_gt_u16_e64 s[4:5], 63, v246
	s_waitcnt vmcnt(25)
	v_mul_f64 v[58:59], v[6:7], v[122:123]
	v_fmac_f64_e32 v[58:59], v[4:5], v[120:121]
	v_mul_f64 v[4:5], v[4:5], v[122:123]
	v_fma_f64 v[60:61], v[6:7], v[120:121], -v[4:5]
	v_accvgpr_write_b32 a56, v120
	s_waitcnt vmcnt(24)
	v_accvgpr_write_b32 a4, v66
	s_waitcnt vmcnt(23)
	v_mul_f64 v[4:5], v[2:3], v[64:65]
	v_fmac_f64_e32 v[4:5], v[0:1], v[62:63]
	v_mul_f64 v[0:1], v[0:1], v[64:65]
	v_fma_f64 v[6:7], v[2:3], v[62:63], -v[0:1]
	v_accvgpr_write_b32 a0, v62
	s_waitcnt vmcnt(22)
	v_mul_f64 v[0:1], v[14:15], v[68:69]
	v_mul_f64 v[2:3], v[12:13], v[68:69]
	v_fmac_f64_e32 v[0:1], v[12:13], v[66:67]
	v_fma_f64 v[2:3], v[14:15], v[66:67], -v[2:3]
	ds_write_b128 v94, v[0:3] offset:2016
	v_accvgpr_write_b32 a57, v121
	v_accvgpr_write_b32 a58, v122
	;; [unrolled: 1-line block ×3, first 2 shown]
	s_waitcnt vmcnt(18)
	v_mul_f64 v[0:1], v[10:11], v[80:81]
	v_mul_f64 v[2:3], v[8:9], v[80:81]
	v_fmac_f64_e32 v[0:1], v[8:9], v[78:79]
	v_fma_f64 v[2:3], v[10:11], v[78:79], -v[2:3]
	ds_write_b128 v94, v[0:3] offset:17136
	v_mul_f64 v[0:1], v[18:19], v[72:73]
	v_mul_f64 v[2:3], v[16:17], v[72:73]
	v_fmac_f64_e32 v[0:1], v[16:17], v[70:71]
	v_fma_f64 v[2:3], v[18:19], v[70:71], -v[2:3]
	ds_write_b128 v94, v[0:3] offset:4032
	s_waitcnt vmcnt(16)
	v_mul_f64 v[0:1], v[22:23], v[76:77]
	v_mul_f64 v[2:3], v[20:21], v[76:77]
	v_fmac_f64_e32 v[0:1], v[20:21], v[74:75]
	v_fma_f64 v[2:3], v[22:23], v[74:75], -v[2:3]
	ds_write_b128 v94, v[0:3] offset:19152
	s_waitcnt vmcnt(14)
	;; [unrolled: 6-line block ×8, first 2 shown]
	v_mul_f64 v[0:1], v[52:53], v[114:115]
	v_mul_f64 v[2:3], v[50:51], v[114:115]
	v_fmac_f64_e32 v[0:1], v[50:51], v[112:113]
	v_fma_f64 v[2:3], v[52:53], v[112:113], -v[2:3]
	v_accvgpr_write_b32 a16, v78
	v_accvgpr_write_b32 a8, v70
	v_accvgpr_write_b32 a12, v74
	v_accvgpr_write_b32 a20, v82
	v_accvgpr_write_b32 a26, v86
	v_accvgpr_write_b32 a30, v96
	v_accvgpr_write_b32 a34, v100
	v_accvgpr_write_b32 a38, v104
	v_accvgpr_write_b32 a42, v108
	v_accvgpr_write_b32 a46, v112
	ds_write_b128 v94, v[0:3] offset:12096
	s_waitcnt vmcnt(0)
	v_mul_f64 v[0:1], v[56:57], v[118:119]
	v_mul_f64 v[2:3], v[54:55], v[118:119]
	v_accvgpr_write_b32 a52, v116
	v_accvgpr_write_b32 a1, v63
	;; [unrolled: 1-line block ×37, first 2 shown]
	v_fmac_f64_e32 v[0:1], v[54:55], v[116:117]
	v_accvgpr_write_b32 a53, v117
	v_accvgpr_write_b32 a54, v118
	v_accvgpr_write_b32 a55, v119
	v_fma_f64 v[2:3], v[56:57], v[116:117], -v[2:3]
	ds_write_b128 v94, v[58:61]
	ds_write_b128 v94, v[4:7] offset:15120
	ds_write_b128 v94, v[0:3] offset:27216
	s_and_saveexec_b64 s[6:7], s[4:5]
	s_cbranch_execz .LBB0_3
; %bb.2:
	v_lshl_add_u64 v[8:9], s[16:17], 4, v[24:25]
	v_add_co_u32_e32 v4, vcc, 0x3000, v92
	global_load_dwordx4 v[0:3], v[8:9], off
	s_nop 0
	v_addc_co_u32_e32 v5, vcc, 0, v93, vcc
	v_lshl_add_u64 v[8:9], s[2:3], 4, v[8:9]
	s_movk_i32 s2, 0x7000
	v_add_co_u32_e32 v12, vcc, s2, v92
	global_load_dwordx4 v[4:7], v[4:5], off offset:1824
	s_nop 0
	v_addc_co_u32_e32 v13, vcc, 0, v93, vcc
	global_load_dwordx4 v[8:11], v[8:9], off
	s_waitcnt vmcnt(1)
	v_mul_f64 v[16:17], v[2:3], v[6:7]
	global_load_dwordx4 v[12:15], v[12:13], off offset:560
	v_mul_f64 v[18:19], v[0:1], v[6:7]
	v_fmac_f64_e32 v[16:17], v[0:1], v[4:5]
	v_fma_f64 v[18:19], v[2:3], v[4:5], -v[18:19]
	s_waitcnt vmcnt(0)
	v_mul_f64 v[6:7], v[10:11], v[14:15]
	v_mul_f64 v[14:15], v[8:9], v[14:15]
	v_fmac_f64_e32 v[6:7], v[8:9], v[12:13]
	v_fma_f64 v[8:9], v[10:11], v[12:13], -v[14:15]
	ds_write_b128 v94, v[16:19] offset:14112
	ds_write_b128 v94, v[6:9] offset:29232
.LBB0_3:
	s_or_b64 exec, exec, s[6:7]
	s_waitcnt lgkmcnt(0)
	s_barrier
	ds_read_b128 v[56:59], v94
	ds_read_b128 v[48:51], v94 offset:2016
	ds_read_b128 v[52:55], v94 offset:17136
	;; [unrolled: 1-line block ×13, first 2 shown]
	s_load_dwordx2 s[0:1], s[0:1], 0x8
                                        ; implicit-def: $vgpr4_vgpr5
                                        ; implicit-def: $vgpr16_vgpr17
	s_and_saveexec_b64 s[2:3], s[4:5]
	s_cbranch_execz .LBB0_5
; %bb.4:
	ds_read_b128 v[4:7], v94 offset:14112
	ds_read_b128 v[16:19], v94 offset:29232
.LBB0_5:
	s_or_b64 exec, exec, s[2:3]
	s_waitcnt lgkmcnt(0)
	v_add_f64 v[8:9], v[0:1], -v[8:9]
	s_mov_b64 s[2:3], 0x7e
	v_add_f64 v[60:61], v[56:57], -v[60:61]
	v_add_f64 v[62:63], v[58:59], -v[62:63]
	v_fma_f64 v[64:65], v[0:1], 2.0, -v[8:9]
	v_add_f64 v[0:1], v[4:5], -v[16:17]
	v_lshlrev_b16_e32 v16, 1, v246
	v_lshl_add_u64 v[230:231], v[246:247], 0, s[2:3]
	s_mov_b64 s[2:3], 0xfc
	v_fma_f64 v[56:57], v[56:57], 2.0, -v[60:61]
	v_fma_f64 v[58:59], v[58:59], 2.0, -v[62:63]
	v_add_f64 v[52:53], v[48:49], -v[52:53]
	v_add_f64 v[54:55], v[50:51], -v[54:55]
	v_lshlrev_b32_e32 v16, 4, v16
	v_lshl_add_u64 v[228:229], v[246:247], 0, s[2:3]
	s_mov_b64 s[2:3], 0x17a
	v_fma_f64 v[48:49], v[48:49], 2.0, -v[52:53]
	v_fma_f64 v[50:51], v[50:51], 2.0, -v[54:55]
	v_add_f64 v[44:45], v[40:41], -v[44:45]
	v_add_f64 v[46:47], v[42:43], -v[46:47]
	s_barrier
	ds_write_b128 v16, v[56:59]
	v_accvgpr_write_b32 a51, v16
	ds_write_b128 v16, v[60:63] offset:16
	v_lshlrev_b32_e32 v16, 5, v230
	v_lshl_add_u64 v[128:129], v[246:247], 0, s[2:3]
	s_mov_b64 s[2:3], 0x1f8
	v_fma_f64 v[40:41], v[40:41], 2.0, -v[44:45]
	v_fma_f64 v[42:43], v[42:43], 2.0, -v[46:47]
	v_add_f64 v[36:37], v[32:33], -v[36:37]
	v_add_f64 v[38:39], v[34:35], -v[38:39]
	ds_write_b128 v16, v[48:51]
	v_accvgpr_write_b32 a60, v16
	ds_write_b128 v16, v[52:55] offset:16
	v_lshlrev_b32_e32 v16, 5, v228
	v_lshl_add_u64 v[136:137], v[246:247], 0, s[2:3]
	s_mov_b64 s[2:3], 0x372
	v_fma_f64 v[32:33], v[32:33], 2.0, -v[36:37]
	v_fma_f64 v[34:35], v[34:35], 2.0, -v[38:39]
	v_add_f64 v[28:29], v[24:25], -v[28:29]
	v_add_f64 v[30:31], v[26:27], -v[30:31]
	ds_write_b128 v16, v[40:43]
	v_accvgpr_write_b32 a61, v16
	ds_write_b128 v16, v[44:47] offset:16
	v_lshlrev_b32_e32 v16, 5, v128
	v_lshlrev_b32_e32 v70, 5, v246
	v_lshl_add_u64 v[68:69], v[246:247], 0, s[2:3]
	v_fma_f64 v[24:25], v[24:25], 2.0, -v[28:29]
	v_fma_f64 v[26:27], v[26:27], 2.0, -v[30:31]
	v_add_f64 v[20:21], v[12:13], -v[20:21]
	v_add_f64 v[22:23], v[14:15], -v[22:23]
	v_add_f64 v[10:11], v[2:3], -v[10:11]
	ds_write_b128 v16, v[32:35]
	v_accvgpr_write_b32 a62, v16
	ds_write_b128 v16, v[36:39] offset:16
	v_lshlrev_b32_e32 v16, 5, v136
	v_fma_f64 v[12:13], v[12:13], 2.0, -v[20:21]
	v_fma_f64 v[14:15], v[14:15], 2.0, -v[22:23]
	;; [unrolled: 1-line block ×3, first 2 shown]
	ds_write_b128 v16, v[24:27]
	ds_write_b128 v16, v[28:31] offset:16
	ds_write_b128 v70, v[12:15] offset:20160
	;; [unrolled: 1-line block ×5, first 2 shown]
	v_lshlrev_b32_e32 v8, 5, v68
	v_add_f64 v[2:3], v[6:7], -v[18:19]
	v_accvgpr_write_b32 a63, v16
	v_accvgpr_write_b32 a69, v70
	;; [unrolled: 1-line block ×3, first 2 shown]
	s_and_saveexec_b64 s[2:3], s[4:5]
	s_cbranch_execz .LBB0_7
; %bb.6:
	v_fma_f64 v[6:7], v[6:7], 2.0, -v[2:3]
	v_fma_f64 v[4:5], v[4:5], 2.0, -v[0:1]
	v_accvgpr_read_b32 v8, a25
	ds_write_b128 v8, v[4:7]
	ds_write_b128 v8, v[0:3] offset:16
.LBB0_7:
	s_or_b64 exec, exec, s[2:3]
	v_and_b32_e32 v95, 1, v246
	v_lshlrev_b32_e32 v4, 5, v95
	s_waitcnt lgkmcnt(0)
	s_barrier
	global_load_dwordx4 v[60:63], v4, s[0:1]
	global_load_dwordx4 v[56:59], v4, s[0:1] offset:16
	ds_read_b128 v[20:23], v94
	ds_read_b128 v[16:19], v94 offset:2016
	ds_read_b128 v[24:27], v94 offset:20160
	;; [unrolled: 1-line block ×14, first 2 shown]
	s_mov_b32 s2, 0xe8584caa
	s_mov_b32 s3, 0x3febb67a
	;; [unrolled: 1-line block ×4, first 2 shown]
	s_waitcnt lgkmcnt(0)
	s_barrier
	s_movk_i32 s16, 0xab
	v_mov_b32_e32 v217, 0
	s_waitcnt vmcnt(1)
	v_mul_f64 v[72:73], v[50:51], v[62:63]
	v_mul_f64 v[74:75], v[48:49], v[62:63]
	s_waitcnt vmcnt(0)
	v_mul_f64 v[76:77], v[26:27], v[58:59]
	v_mul_f64 v[78:79], v[24:25], v[58:59]
	;; [unrolled: 1-line block ×8, first 2 shown]
	v_fma_f64 v[48:49], v[48:49], v[60:61], -v[72:73]
	v_fmac_f64_e32 v[74:75], v[50:51], v[60:61]
	v_fma_f64 v[24:25], v[24:25], v[56:57], -v[76:77]
	v_fmac_f64_e32 v[78:79], v[26:27], v[56:57]
	v_fma_f64 v[50:51], v[32:33], v[60:61], -v[80:81]
	v_fma_f64 v[72:73], v[28:29], v[56:57], -v[84:85]
	v_mul_f64 v[88:89], v[38:39], v[62:63]
	v_mul_f64 v[98:99], v[40:41], v[58:59]
	v_fmac_f64_e32 v[82:83], v[34:35], v[60:61]
	v_fmac_f64_e32 v[86:87], v[30:31], v[56:57]
	v_fmac_f64_e32 v[90:91], v[38:39], v[60:61]
	v_fma_f64 v[80:81], v[40:41], v[56:57], -v[96:97]
	v_add_f64 v[28:29], v[48:49], v[24:25]
	v_add_f64 v[34:35], v[74:75], v[78:79]
	;; [unrolled: 1-line block ×4, first 2 shown]
	v_fma_f64 v[76:77], v[36:37], v[60:61], -v[88:89]
	v_fmac_f64_e32 v[98:99], v[42:43], v[56:57]
	v_add_f64 v[26:27], v[20:21], v[48:49]
	v_add_f64 v[30:31], v[74:75], -v[78:79]
	v_add_f64 v[32:33], v[22:23], v[74:75]
	v_add_f64 v[36:37], v[48:49], -v[24:25]
	v_add_f64 v[42:43], v[82:83], -v[86:87]
	v_fmac_f64_e32 v[20:21], -0.5, v[28:29]
	v_fmac_f64_e32 v[22:23], -0.5, v[34:35]
	v_add_f64 v[28:29], v[38:39], v[72:73]
	v_fmac_f64_e32 v[16:17], -0.5, v[40:41]
	v_add_f64 v[38:39], v[82:83], v[86:87]
	v_mul_f64 v[100:101], v[54:55], v[62:63]
	v_mul_f64 v[102:103], v[52:53], v[62:63]
	;; [unrolled: 1-line block ×4, first 2 shown]
	v_add_f64 v[24:25], v[26:27], v[24:25]
	v_add_f64 v[26:27], v[32:33], v[78:79]
	v_fma_f64 v[32:33], s[2:3], v[30:31], v[20:21]
	v_fmac_f64_e32 v[20:21], s[6:7], v[30:31]
	v_fma_f64 v[34:35], s[6:7], v[36:37], v[22:23]
	v_fmac_f64_e32 v[22:23], s[2:3], v[36:37]
	;; [unrolled: 2-line block ×3, first 2 shown]
	v_add_f64 v[30:31], v[18:19], v[82:83]
	v_fmac_f64_e32 v[18:19], -0.5, v[38:39]
	v_add_f64 v[40:41], v[50:51], -v[72:73]
	v_add_f64 v[42:43], v[76:77], v[80:81]
	v_fma_f64 v[84:85], v[52:53], v[60:61], -v[100:101]
	v_fmac_f64_e32 v[102:103], v[54:55], v[60:61]
	v_fma_f64 v[54:55], v[44:45], v[56:57], -v[104:105]
	v_fmac_f64_e32 v[106:107], v[46:47], v[56:57]
	v_fma_f64 v[38:39], s[6:7], v[40:41], v[18:19]
	v_fmac_f64_e32 v[18:19], s[2:3], v[40:41]
	v_add_f64 v[40:41], v[12:13], v[76:77]
	v_fmac_f64_e32 v[12:13], -0.5, v[42:43]
	v_add_f64 v[42:43], v[90:91], -v[98:99]
	v_add_f64 v[46:47], v[90:91], v[98:99]
	v_mul_f64 v[108:109], v[66:67], v[62:63]
	v_mul_f64 v[112:113], v[70:71], v[58:59]
	v_fma_f64 v[44:45], s[2:3], v[42:43], v[12:13]
	v_fmac_f64_e32 v[12:13], s[6:7], v[42:43]
	v_add_f64 v[42:43], v[14:15], v[90:91]
	v_fmac_f64_e32 v[14:15], -0.5, v[46:47]
	v_add_f64 v[48:49], v[76:77], -v[80:81]
	v_add_f64 v[50:51], v[84:85], v[54:55]
	v_mul_f64 v[110:111], v[64:65], v[62:63]
	v_mul_f64 v[114:115], v[68:69], v[58:59]
	v_fma_f64 v[88:89], v[64:65], v[60:61], -v[108:109]
	v_fma_f64 v[96:97], v[68:69], v[56:57], -v[112:113]
	v_fma_f64 v[46:47], s[6:7], v[48:49], v[14:15]
	v_fmac_f64_e32 v[14:15], s[2:3], v[48:49]
	v_add_f64 v[48:49], v[8:9], v[84:85]
	v_fmac_f64_e32 v[8:9], -0.5, v[50:51]
	v_add_f64 v[50:51], v[102:103], -v[106:107]
	v_add_f64 v[64:65], v[102:103], v[106:107]
	v_fmac_f64_e32 v[110:111], v[66:67], v[60:61]
	v_fmac_f64_e32 v[114:115], v[70:71], v[56:57]
	v_fma_f64 v[52:53], s[2:3], v[50:51], v[8:9]
	v_fmac_f64_e32 v[8:9], s[6:7], v[50:51]
	v_add_f64 v[50:51], v[10:11], v[102:103]
	v_fmac_f64_e32 v[10:11], -0.5, v[64:65]
	v_add_f64 v[64:65], v[84:85], -v[54:55]
	v_add_f64 v[66:67], v[88:89], v[96:97]
	v_add_f64 v[48:49], v[48:49], v[54:55]
	v_fma_f64 v[54:55], s[6:7], v[64:65], v[10:11]
	v_fmac_f64_e32 v[10:11], s[2:3], v[64:65]
	v_add_f64 v[64:65], v[4:5], v[88:89]
	v_fmac_f64_e32 v[4:5], -0.5, v[66:67]
	v_add_f64 v[66:67], v[110:111], -v[114:115]
	v_add_f64 v[70:71], v[110:111], v[114:115]
	v_fma_f64 v[68:69], s[2:3], v[66:67], v[4:5]
	v_fmac_f64_e32 v[4:5], s[6:7], v[66:67]
	v_add_f64 v[66:67], v[6:7], v[110:111]
	v_fmac_f64_e32 v[6:7], -0.5, v[70:71]
	v_add_f64 v[72:73], v[88:89], -v[96:97]
	v_fma_f64 v[70:71], s[6:7], v[72:73], v[6:7]
	v_fmac_f64_e32 v[6:7], s[2:3], v[72:73]
	v_lshrrev_b32_e32 v72, 1, v246
	v_mul_u32_u24_e32 v72, 6, v72
	v_or_b32_e32 v72, v72, v95
	v_lshlrev_b32_e32 v72, 4, v72
	ds_write_b128 v72, v[24:27]
	ds_write_b128 v72, v[32:35] offset:32
	ds_write_b128 v72, v[20:23] offset:64
	v_lshrrev_b32_e32 v20, 1, v230
	v_mul_u32_u24_e32 v20, 6, v20
	v_or_b32_e32 v20, v20, v95
	v_add_f64 v[30:31], v[30:31], v[86:87]
	v_lshlrev_b32_e32 v20, 4, v20
	ds_write_b128 v20, v[28:31]
	ds_write_b128 v20, v[36:39] offset:32
	ds_write_b128 v20, v[16:19] offset:64
	v_lshrrev_b32_e32 v16, 1, v228
	v_mul_u32_u24_e32 v16, 6, v16
	v_or_b32_e32 v16, v16, v95
	v_add_f64 v[40:41], v[40:41], v[80:81]
	v_add_f64 v[42:43], v[42:43], v[98:99]
	v_lshlrev_b32_e32 v16, 4, v16
	ds_write_b128 v16, v[40:43]
	ds_write_b128 v16, v[44:47] offset:32
	ds_write_b128 v16, v[12:15] offset:64
	v_lshrrev_b32_e32 v12, 1, v128
	v_mul_u32_u24_e32 v12, 6, v12
	v_or_b32_e32 v12, v12, v95
	v_add_f64 v[50:51], v[50:51], v[106:107]
	v_lshlrev_b32_e32 v12, 4, v12
	ds_write_b128 v12, v[48:51]
	ds_write_b128 v12, v[52:55] offset:32
	ds_write_b128 v12, v[8:11] offset:64
	v_lshrrev_b32_e32 v8, 1, v136
	v_mul_u32_u24_e32 v8, 6, v8
	v_or_b32_e32 v8, v8, v95
	v_add_f64 v[64:65], v[64:65], v[96:97]
	v_add_f64 v[66:67], v[66:67], v[114:115]
	v_lshlrev_b32_e32 v8, 4, v8
	ds_write_b128 v8, v[64:67]
	ds_write_b128 v8, v[68:71] offset:32
	ds_write_b128 v8, v[4:7] offset:64
	v_mul_lo_u16_sdwa v4, v246, s16 dst_sel:DWORD dst_unused:UNUSED_PAD src0_sel:BYTE_0 src1_sel:DWORD
	v_lshrrev_b16_e32 v64, 10, v4
	v_mul_lo_u16_e32 v4, 6, v64
	v_sub_u16_e32 v4, v246, v4
	v_and_b32_e32 v65, 0xff, v4
	v_lshlrev_b32_e32 v4, 5, v65
	v_accvgpr_write_b32 a64, v72
	s_waitcnt lgkmcnt(0)
	s_barrier
	global_load_dwordx4 v[72:75], v4, s[0:1] offset:80
	global_load_dwordx4 v[76:79], v4, s[0:1] offset:64
	v_mul_lo_u16_sdwa v4, v230, s16 dst_sel:DWORD dst_unused:UNUSED_PAD src0_sel:BYTE_0 src1_sel:DWORD
	v_lshrrev_b16_e32 v66, 10, v4
	v_mul_lo_u16_e32 v4, 6, v66
	v_sub_u16_e32 v4, v230, v4
	v_and_b32_e32 v67, 0xff, v4
	v_lshlrev_b32_e32 v4, 5, v67
	s_mov_b32 s16, 0xaaab
	global_load_dwordx4 v[80:83], v4, s[0:1] offset:80
	global_load_dwordx4 v[112:115], v4, s[0:1] offset:64
	v_mul_u32_u24_sdwa v4, v228, s16 dst_sel:DWORD dst_unused:UNUSED_PAD src0_sel:WORD_0 src1_sel:DWORD
	v_lshrrev_b32_e32 v84, 18, v4
	v_mul_lo_u16_e32 v4, 6, v84
	v_sub_u16_e32 v85, v228, v4
	v_lshlrev_b16_e32 v216, 5, v85
	v_lshl_add_u64 v[4:5], s[0:1], 0, v[216:217]
	global_load_dwordx4 v[120:123], v[4:5], off offset:64
	global_load_dwordx4 v[116:119], v[4:5], off offset:80
	v_mul_u32_u24_sdwa v4, v128, s16 dst_sel:DWORD dst_unused:UNUSED_PAD src0_sel:WORD_0 src1_sel:DWORD
	v_lshrrev_b32_e32 v86, 18, v4
	v_mul_lo_u16_e32 v4, 6, v86
	v_sub_u16_e32 v87, v128, v4
	v_lshlrev_b16_e32 v216, 5, v87
	v_lshl_add_u64 v[4:5], s[0:1], 0, v[216:217]
	global_load_dwordx4 v[130:133], v[4:5], off offset:64
	global_load_dwordx4 v[124:127], v[4:5], off offset:80
	;; [unrolled: 8-line block ×3, first 2 shown]
	v_accvgpr_write_b32 a65, v20
	v_accvgpr_write_b32 a66, v16
	;; [unrolled: 1-line block ×4, first 2 shown]
	ds_read_b128 v[16:19], v94
	ds_read_b128 v[20:23], v94 offset:2016
	ds_read_b128 v[24:27], v94 offset:20160
	;; [unrolled: 1-line block ×14, first 2 shown]
	v_mul_u32_u24_e32 v64, 18, v64
	v_add_lshl_u32 v64, v64, v65, 4
	s_waitcnt lgkmcnt(0)
	s_barrier
	v_accvgpr_write_b32 a102, v64
	s_mov_b32 s16, 0xe38f
	s_waitcnt vmcnt(9)
	v_mul_f64 v[70:71], v[24:25], v[74:75]
	s_waitcnt vmcnt(8)
	v_mul_f64 v[68:69], v[50:51], v[78:79]
	v_fma_f64 v[68:69], v[48:49], v[76:77], -v[68:69]
	v_mul_f64 v[48:49], v[48:49], v[78:79]
	v_fmac_f64_e32 v[48:49], v[50:51], v[76:77]
	v_mul_f64 v[50:51], v[26:27], v[74:75]
	v_fma_f64 v[50:51], v[24:25], v[72:73], -v[50:51]
	v_accvgpr_write_b32 a70, v72
	v_accvgpr_write_b32 a74, v76
	s_waitcnt vmcnt(6)
	v_mul_f64 v[24:25], v[34:35], v[114:115]
	v_accvgpr_write_b32 a71, v73
	v_accvgpr_write_b32 a72, v74
	;; [unrolled: 1-line block ×3, first 2 shown]
	v_fmac_f64_e32 v[70:71], v[26:27], v[72:73]
	v_fma_f64 v[72:73], v[32:33], v[112:113], -v[24:25]
	v_mul_f64 v[24:25], v[30:31], v[82:83]
	v_accvgpr_write_b32 a75, v77
	v_accvgpr_write_b32 a76, v78
	;; [unrolled: 1-line block ×3, first 2 shown]
	v_fma_f64 v[76:77], v[28:29], v[80:81], -v[24:25]
	v_mul_f64 v[78:79], v[28:29], v[82:83]
	v_accvgpr_write_b32 a78, v80
	s_waitcnt vmcnt(5)
	v_mul_f64 v[24:25], v[38:39], v[122:123]
	v_mul_f64 v[74:75], v[32:33], v[114:115]
	v_accvgpr_write_b32 a82, v112
	v_accvgpr_write_b32 a79, v81
	;; [unrolled: 1-line block ×4, first 2 shown]
	v_fmac_f64_e32 v[78:79], v[30:31], v[80:81]
	v_fma_f64 v[80:81], v[36:37], v[120:121], -v[24:25]
	s_waitcnt vmcnt(4)
	v_mul_f64 v[24:25], v[42:43], v[118:119]
	v_accvgpr_write_b32 a83, v113
	v_accvgpr_write_b32 a84, v114
	;; [unrolled: 1-line block ×3, first 2 shown]
	v_fmac_f64_e32 v[74:75], v[34:35], v[112:113]
	v_fma_f64 v[112:113], v[40:41], v[116:117], -v[24:25]
	v_mul_f64 v[114:115], v[40:41], v[118:119]
	v_accvgpr_write_b32 a86, v116
	s_waitcnt vmcnt(3)
	v_mul_f64 v[24:25], v[54:55], v[132:133]
	v_accvgpr_write_b32 a87, v117
	v_accvgpr_write_b32 a88, v118
	;; [unrolled: 1-line block ×3, first 2 shown]
	v_fmac_f64_e32 v[114:115], v[42:43], v[116:117]
	v_fma_f64 v[116:117], v[52:53], v[130:131], -v[24:25]
	v_mul_f64 v[118:119], v[52:53], v[132:133]
	s_waitcnt vmcnt(2)
	v_mul_f64 v[24:25], v[46:47], v[126:127]
	v_accvgpr_write_b32 a90, v120
	v_fmac_f64_e32 v[118:119], v[54:55], v[130:131]
	v_fma_f64 v[54:55], v[44:45], v[124:125], -v[24:25]
	s_waitcnt vmcnt(1)
	v_mul_f64 v[24:25], v[106:107], v[102:103]
	v_mul_f64 v[82:83], v[36:37], v[122:123]
	v_accvgpr_write_b32 a91, v121
	v_accvgpr_write_b32 a92, v122
	;; [unrolled: 1-line block ×4, first 2 shown]
	v_fma_f64 v[122:123], v[104:105], v[100:101], -v[24:25]
	s_waitcnt vmcnt(0)
	v_mul_f64 v[24:25], v[110:111], v[98:99]
	v_add_f64 v[26:27], v[68:69], v[50:51]
	v_fmac_f64_e32 v[82:83], v[38:39], v[120:121]
	v_mul_f64 v[120:121], v[44:45], v[126:127]
	v_accvgpr_write_b32 a95, v125
	v_accvgpr_write_b32 a96, v126
	;; [unrolled: 1-line block ×3, first 2 shown]
	v_fma_f64 v[126:127], v[108:109], v[96:97], -v[24:25]
	v_add_f64 v[24:25], v[16:17], v[68:69]
	v_fmac_f64_e32 v[16:17], -0.5, v[26:27]
	v_add_f64 v[26:27], v[48:49], -v[70:71]
	v_add_f64 v[30:31], v[48:49], v[70:71]
	v_fma_f64 v[28:29], s[2:3], v[26:27], v[16:17]
	v_fmac_f64_e32 v[16:17], s[6:7], v[26:27]
	v_add_f64 v[26:27], v[18:19], v[48:49]
	v_fmac_f64_e32 v[18:19], -0.5, v[30:31]
	v_add_f64 v[32:33], v[68:69], -v[50:51]
	v_add_f64 v[34:35], v[72:73], v[76:77]
	v_fma_f64 v[30:31], s[6:7], v[32:33], v[18:19]
	v_fmac_f64_e32 v[18:19], s[2:3], v[32:33]
	;; [unrolled: 6-line block ×3, first 2 shown]
	v_add_f64 v[34:35], v[22:23], v[74:75]
	v_fmac_f64_e32 v[22:23], -0.5, v[38:39]
	v_add_f64 v[40:41], v[72:73], -v[76:77]
	v_add_f64 v[42:43], v[80:81], v[112:113]
	v_fmac_f64_e32 v[120:121], v[46:47], v[124:125]
	v_fma_f64 v[38:39], s[6:7], v[40:41], v[22:23]
	v_fmac_f64_e32 v[22:23], s[2:3], v[40:41]
	v_add_f64 v[40:41], v[12:13], v[80:81]
	v_fmac_f64_e32 v[12:13], -0.5, v[42:43]
	v_add_f64 v[42:43], v[82:83], -v[114:115]
	v_add_f64 v[46:47], v[82:83], v[114:115]
	v_add_f64 v[24:25], v[24:25], v[50:51]
	v_fma_f64 v[44:45], s[2:3], v[42:43], v[12:13]
	v_fmac_f64_e32 v[12:13], s[6:7], v[42:43]
	v_add_f64 v[42:43], v[14:15], v[82:83]
	v_fmac_f64_e32 v[14:15], -0.5, v[46:47]
	v_add_f64 v[48:49], v[80:81], -v[112:113]
	v_add_f64 v[50:51], v[116:117], v[54:55]
	v_add_f64 v[26:27], v[26:27], v[70:71]
	v_fma_f64 v[46:47], s[6:7], v[48:49], v[14:15]
	v_fmac_f64_e32 v[14:15], s[2:3], v[48:49]
	v_add_f64 v[48:49], v[8:9], v[116:117]
	v_fmac_f64_e32 v[8:9], -0.5, v[50:51]
	v_add_f64 v[50:51], v[118:119], -v[120:121]
	v_add_f64 v[68:69], v[118:119], v[120:121]
	v_accvgpr_write_b32 a98, v130
	v_fma_f64 v[52:53], s[2:3], v[50:51], v[8:9]
	v_fmac_f64_e32 v[8:9], s[6:7], v[50:51]
	v_add_f64 v[50:51], v[10:11], v[118:119]
	v_fmac_f64_e32 v[10:11], -0.5, v[68:69]
	v_add_f64 v[68:69], v[116:117], -v[54:55]
	ds_write_b128 v64, v[24:27]
	ds_write_b128 v64, v[28:31] offset:96
	ds_write_b128 v64, v[16:19] offset:192
	v_mul_u32_u24_e32 v16, 18, v66
	v_accvgpr_write_b32 a99, v131
	v_accvgpr_write_b32 a100, v132
	;; [unrolled: 1-line block ×3, first 2 shown]
	v_mul_f64 v[124:125], v[104:105], v[102:103]
	v_mul_f64 v[130:131], v[108:109], v[98:99]
	v_add_f64 v[32:33], v[32:33], v[76:77]
	v_add_f64 v[34:35], v[34:35], v[78:79]
	;; [unrolled: 1-line block ×3, first 2 shown]
	v_fma_f64 v[54:55], s[6:7], v[68:69], v[10:11]
	v_fmac_f64_e32 v[10:11], s[2:3], v[68:69]
	v_add_f64 v[68:69], v[4:5], v[122:123]
	v_add_lshl_u32 v16, v16, v67, 4
	v_fmac_f64_e32 v[124:125], v[106:107], v[100:101]
	v_fmac_f64_e32 v[130:131], v[110:111], v[96:97]
	v_add_f64 v[104:105], v[68:69], v[126:127]
	v_add_f64 v[68:69], v[122:123], v[126:127]
	ds_write_b128 v16, v[32:35]
	ds_write_b128 v16, v[36:39] offset:96
	v_accvgpr_write_b32 a103, v16
	ds_write_b128 v16, v[20:23] offset:192
	v_mad_legacy_u16 v16, v84, 18, v85
	v_add_f64 v[40:41], v[40:41], v[112:113]
	v_add_f64 v[42:43], v[42:43], v[114:115]
	v_fmac_f64_e32 v[4:5], -0.5, v[68:69]
	v_add_f64 v[68:69], v[124:125], -v[130:131]
	v_lshlrev_b32_e32 v16, 4, v16
	v_fma_f64 v[108:109], s[2:3], v[68:69], v[4:5]
	v_fmac_f64_e32 v[4:5], s[6:7], v[68:69]
	v_add_f64 v[68:69], v[6:7], v[124:125]
	ds_write_b128 v16, v[40:43]
	ds_write_b128 v16, v[44:47] offset:96
	ds_write_b128 v16, v[12:15] offset:192
	v_mad_legacy_u16 v12, v86, 18, v87
	v_add_f64 v[50:51], v[50:51], v[120:121]
	v_add_f64 v[106:107], v[68:69], v[130:131]
	;; [unrolled: 1-line block ×3, first 2 shown]
	v_lshlrev_b32_e32 v12, 4, v12
	v_fmac_f64_e32 v[6:7], -0.5, v[68:69]
	v_add_f64 v[68:69], v[122:123], -v[126:127]
	ds_write_b128 v12, v[48:51]
	ds_write_b128 v12, v[52:55] offset:96
	ds_write_b128 v12, v[8:11] offset:192
	v_mad_legacy_u16 v8, v88, 18, v89
	v_fma_f64 v[110:111], s[6:7], v[68:69], v[6:7]
	v_fmac_f64_e32 v[6:7], s[2:3], v[68:69]
	v_lshlrev_b32_e32 v8, 4, v8
	ds_write_b128 v8, v[104:107]
	ds_write_b128 v8, v[108:111] offset:96
	ds_write_b128 v8, v[4:7] offset:192
	v_mov_b32_e32 v4, 57
	v_mul_lo_u16_sdwa v5, v246, v4 dst_sel:DWORD dst_unused:UNUSED_PAD src0_sel:BYTE_0 src1_sel:DWORD
	v_mul_lo_u16_sdwa v4, v230, v4 dst_sel:DWORD dst_unused:UNUSED_PAD src0_sel:BYTE_0 src1_sel:DWORD
	v_lshrrev_b16_e32 v64, 10, v5
	v_lshrrev_b16_e32 v66, 10, v4
	v_mul_lo_u16_e32 v5, 18, v64
	v_mul_lo_u16_e32 v4, 18, v66
	v_sub_u16_e32 v5, v246, v5
	v_sub_u16_e32 v4, v230, v4
	v_and_b32_e32 v65, 0xff, v5
	v_and_b32_e32 v67, 0xff, v4
	v_lshlrev_b32_e32 v5, 5, v65
	v_lshlrev_b32_e32 v4, 5, v67
	s_waitcnt lgkmcnt(0)
	s_barrier
	global_load_dwordx4 v[104:107], v5, s[0:1] offset:272
	global_load_dwordx4 v[108:111], v5, s[0:1] offset:256
	;; [unrolled: 1-line block ×4, first 2 shown]
	v_mul_u32_u24_sdwa v4, v228, s16 dst_sel:DWORD dst_unused:UNUSED_PAD src0_sel:WORD_0 src1_sel:DWORD
	v_lshrrev_b32_e32 v84, 20, v4
	v_mul_lo_u16_e32 v4, 18, v84
	v_sub_u16_e32 v85, v228, v4
	v_lshlrev_b16_e32 v216, 5, v85
	v_lshl_add_u64 v[4:5], s[0:1], 0, v[216:217]
	global_load_dwordx4 v[124:127], v[4:5], off offset:256
	global_load_dwordx4 v[120:123], v[4:5], off offset:272
	v_mul_u32_u24_sdwa v4, v128, s16 dst_sel:DWORD dst_unused:UNUSED_PAD src0_sel:WORD_0 src1_sel:DWORD
	v_lshrrev_b32_e32 v86, 20, v4
	v_mul_lo_u16_e32 v4, 18, v86
	v_sub_u16_e32 v87, v128, v4
	v_lshlrev_b16_e32 v216, 5, v87
	v_lshl_add_u64 v[4:5], s[0:1], 0, v[216:217]
	global_load_dwordx4 v[132:135], v[4:5], off offset:256
	global_load_dwordx4 v[128:131], v[4:5], off offset:272
	;; [unrolled: 8-line block ×3, first 2 shown]
	v_accvgpr_write_b32 a104, v16
	v_accvgpr_write_b32 a105, v12
	;; [unrolled: 1-line block ×3, first 2 shown]
	ds_read_b128 v[8:11], v94 offset:10080
	ds_read_b128 v[12:15], v94 offset:20160
	;; [unrolled: 1-line block ×10, first 2 shown]
	s_waitcnt vmcnt(9) lgkmcnt(8)
	v_mul_f64 v[50:51], v[12:13], v[106:107]
	s_waitcnt vmcnt(8)
	v_mul_f64 v[44:45], v[10:11], v[110:111]
	v_fma_f64 v[44:45], v[8:9], v[108:109], -v[44:45]
	v_mul_f64 v[46:47], v[8:9], v[110:111]
	v_mul_f64 v[8:9], v[14:15], v[106:107]
	v_fma_f64 v[48:49], v[12:13], v[104:105], -v[8:9]
	s_waitcnt vmcnt(6) lgkmcnt(6)
	v_mul_f64 v[8:9], v[22:23], v[118:119]
	v_fma_f64 v[52:53], v[20:21], v[116:117], -v[8:9]
	v_mul_f64 v[8:9], v[18:19], v[114:115]
	v_fma_f64 v[68:69], v[16:17], v[112:113], -v[8:9]
	v_mul_f64 v[70:71], v[16:17], v[114:115]
	s_waitcnt vmcnt(5) lgkmcnt(5)
	v_mul_f64 v[8:9], v[26:27], v[126:127]
	v_fmac_f64_e32 v[70:71], v[18:19], v[112:113]
	v_fma_f64 v[18:19], v[24:25], v[124:125], -v[8:9]
	s_waitcnt vmcnt(4) lgkmcnt(4)
	v_mul_f64 v[8:9], v[30:31], v[122:123]
	v_fma_f64 v[74:75], v[28:29], v[120:121], -v[8:9]
	s_waitcnt vmcnt(3) lgkmcnt(1)
	v_mul_f64 v[8:9], v[38:39], v[134:135]
	v_fma_f64 v[12:13], v[36:37], v[132:133], -v[8:9]
	s_waitcnt vmcnt(2)
	v_mul_f64 v[8:9], v[34:35], v[130:131]
	v_fmac_f64_e32 v[46:47], v[10:11], v[108:109]
	v_mul_f64 v[54:55], v[20:21], v[118:119]
	v_fma_f64 v[16:17], v[32:33], v[128:129], -v[8:9]
	ds_read_b128 v[8:11], v94 offset:28224
	s_waitcnt vmcnt(1) lgkmcnt(1)
	v_mul_f64 v[20:21], v[42:43], v[142:143]
	v_fmac_f64_e32 v[54:55], v[22:23], v[116:117]
	v_fma_f64 v[80:81], v[40:41], v[140:141], -v[20:21]
	ds_read_b128 v[20:23], v94
	v_mul_f64 v[72:73], v[24:25], v[126:127]
	s_waitcnt vmcnt(0) lgkmcnt(1)
	v_mul_f64 v[24:25], v[10:11], v[138:139]
	v_mul_f64 v[146:147], v[8:9], v[138:139]
	v_fmac_f64_e32 v[50:51], v[14:15], v[104:105]
	v_fmac_f64_e32 v[72:73], v[26:27], v[124:125]
	v_mul_f64 v[76:77], v[28:29], v[122:123]
	v_fma_f64 v[144:145], v[8:9], v[136:137], -v[24:25]
	v_fmac_f64_e32 v[146:147], v[10:11], v[136:137]
	ds_read_b128 v[8:11], v94 offset:2016
	s_waitcnt lgkmcnt(1)
	v_add_f64 v[24:25], v[20:21], v[44:45]
	v_add_f64 v[26:27], v[22:23], v[46:47]
	v_mul_u32_u24_e32 v28, 54, v64
	v_mul_f64 v[78:79], v[32:33], v[130:131]
	v_mul_f64 v[82:83], v[40:41], v[142:143]
	v_add_f64 v[24:25], v[24:25], v[48:49]
	v_add_f64 v[26:27], v[26:27], v[50:51]
	v_add_lshl_u32 v40, v28, v65, 4
	v_fmac_f64_e32 v[76:77], v[30:31], v[120:121]
	v_fmac_f64_e32 v[78:79], v[34:35], v[128:129]
	ds_read_b128 v[28:31], v94 offset:4032
	ds_read_b128 v[32:35], v94 offset:6048
	s_waitcnt lgkmcnt(0)
	s_barrier
	ds_write_b128 v40, v[24:27]
	v_add_f64 v[24:25], v[44:45], v[48:49]
	v_mul_f64 v[14:15], v[36:37], v[134:135]
	v_fmac_f64_e32 v[20:21], -0.5, v[24:25]
	v_add_f64 v[24:25], v[46:47], v[50:51]
	v_fmac_f64_e32 v[14:15], v[38:39], v[132:133]
	v_add_f64 v[36:37], v[46:47], -v[50:51]
	v_fmac_f64_e32 v[22:23], -0.5, v[24:25]
	v_add_f64 v[38:39], v[44:45], -v[48:49]
	v_fma_f64 v[24:25], s[2:3], v[36:37], v[20:21]
	v_fma_f64 v[26:27], s[6:7], v[38:39], v[22:23]
	v_fmac_f64_e32 v[20:21], s[6:7], v[36:37]
	v_fmac_f64_e32 v[22:23], s[2:3], v[38:39]
	ds_write_b128 v40, v[20:23] offset:576
	v_add_f64 v[20:21], v[52:53], v[68:69]
	ds_write_b128 v40, v[24:27] offset:288
	v_add_f64 v[22:23], v[8:9], v[52:53]
	v_fmac_f64_e32 v[8:9], -0.5, v[20:21]
	v_add_f64 v[24:25], v[54:55], -v[70:71]
	v_fma_f64 v[20:21], s[2:3], v[24:25], v[8:9]
	v_fmac_f64_e32 v[8:9], s[6:7], v[24:25]
	v_add_f64 v[24:25], v[22:23], v[68:69]
	v_add_f64 v[22:23], v[10:11], v[54:55]
	v_add_f64 v[26:27], v[22:23], v[70:71]
	v_add_f64 v[22:23], v[54:55], v[70:71]
	v_fmac_f64_e32 v[10:11], -0.5, v[22:23]
	v_add_f64 v[36:37], v[52:53], -v[68:69]
	v_fma_f64 v[22:23], s[6:7], v[36:37], v[10:11]
	v_fmac_f64_e32 v[10:11], s[2:3], v[36:37]
	v_add_f64 v[36:37], v[18:19], v[74:75]
	v_accvgpr_write_b32 a107, v40
	v_add_f64 v[38:39], v[28:29], v[18:19]
	v_fmac_f64_e32 v[28:29], -0.5, v[36:37]
	v_add_f64 v[40:41], v[72:73], -v[76:77]
	v_fma_f64 v[36:37], s[2:3], v[40:41], v[28:29]
	v_fmac_f64_e32 v[28:29], s[6:7], v[40:41]
	v_add_f64 v[40:41], v[38:39], v[74:75]
	v_add_f64 v[38:39], v[30:31], v[72:73]
	v_fmac_f64_e32 v[82:83], v[42:43], v[140:141]
	v_add_f64 v[42:43], v[38:39], v[76:77]
	v_add_f64 v[38:39], v[72:73], v[76:77]
	v_fmac_f64_e32 v[30:31], -0.5, v[38:39]
	v_add_f64 v[18:19], v[18:19], -v[74:75]
	v_fma_f64 v[38:39], s[6:7], v[18:19], v[30:31]
	v_fmac_f64_e32 v[30:31], s[2:3], v[18:19]
	v_add_f64 v[18:19], v[32:33], v[12:13]
	v_add_f64 v[44:45], v[12:13], v[16:17]
	v_add_f64 v[46:47], v[14:15], -v[78:79]
	v_add_f64 v[48:49], v[18:19], v[16:17]
	v_add_f64 v[18:19], v[34:35], v[14:15]
	;; [unrolled: 1-line block ×3, first 2 shown]
	v_fmac_f64_e32 v[32:33], -0.5, v[44:45]
	v_fmac_f64_e32 v[34:35], -0.5, v[14:15]
	v_add_f64 v[12:13], v[12:13], -v[16:17]
	v_fma_f64 v[44:45], s[2:3], v[46:47], v[32:33]
	v_fmac_f64_e32 v[32:33], s[6:7], v[46:47]
	v_fma_f64 v[46:47], s[6:7], v[12:13], v[34:35]
	v_fmac_f64_e32 v[34:35], s[2:3], v[12:13]
	v_add_f64 v[12:13], v[80:81], v[144:145]
	v_add_f64 v[14:15], v[4:5], v[80:81]
	v_fmac_f64_e32 v[4:5], -0.5, v[12:13]
	v_add_f64 v[16:17], v[82:83], -v[146:147]
	v_fma_f64 v[12:13], s[2:3], v[16:17], v[4:5]
	v_fmac_f64_e32 v[4:5], s[6:7], v[16:17]
	v_add_f64 v[16:17], v[14:15], v[144:145]
	v_add_f64 v[14:15], v[6:7], v[82:83]
	;; [unrolled: 1-line block ×5, first 2 shown]
	v_fmac_f64_e32 v[6:7], -0.5, v[14:15]
	v_add_f64 v[52:53], v[80:81], -v[144:145]
	v_fma_f64 v[14:15], s[6:7], v[52:53], v[6:7]
	v_fmac_f64_e32 v[6:7], s[2:3], v[52:53]
	v_mul_u32_u24_e32 v52, 54, v66
	v_add_lshl_u32 v52, v52, v67, 4
	ds_write_b128 v52, v[24:27]
	ds_write_b128 v52, v[20:23] offset:288
	ds_write_b128 v52, v[8:11] offset:576
	v_mad_legacy_u16 v8, v84, 54, v85
	v_lshlrev_b32_e32 v8, 4, v8
	ds_write_b128 v8, v[40:43]
	ds_write_b128 v8, v[36:39] offset:288
	v_accvgpr_write_b32 a129, v8
	ds_write_b128 v8, v[28:31] offset:576
	v_mad_legacy_u16 v8, v86, 54, v87
	v_lshlrev_b32_e32 v8, 4, v8
	ds_write_b128 v8, v[48:51]
	ds_write_b128 v8, v[44:47] offset:288
	v_accvgpr_write_b32 a130, v8
	ds_write_b128 v8, v[32:35] offset:576
	v_mad_legacy_u16 v8, v88, 54, v89
	v_lshlrev_b32_e32 v8, 4, v8
	v_accvgpr_write_b32 a128, v52
	ds_write_b128 v8, v[16:19]
	ds_write_b128 v8, v[12:15] offset:288
	v_accvgpr_write_b32 a131, v8
	ds_write_b128 v8, v[4:7] offset:576
	s_waitcnt lgkmcnt(0)
	s_barrier
	ds_read_b128 v[12:15], v94
	ds_read_b128 v[8:11], v94 offset:2016
	ds_read_b128 v[184:187], v94 offset:4320
	;; [unrolled: 1-line block ×13, first 2 shown]
	v_cmp_gt_u16_e64 s[2:3], 18, v246
                                        ; implicit-def: $vgpr24_vgpr25
                                        ; implicit-def: $vgpr28_vgpr29
                                        ; implicit-def: $vgpr32_vgpr33
                                        ; implicit-def: $vgpr16_vgpr17
                                        ; implicit-def: $vgpr20_vgpr21
	s_and_saveexec_b64 s[6:7], s[2:3]
	s_cbranch_execz .LBB0_9
; %bb.8:
	ds_read_b128 v[4:7], v94 offset:4032
	ds_read_b128 v[0:3], v94 offset:8352
	;; [unrolled: 1-line block ×7, first 2 shown]
.LBB0_9:
	s_or_b64 exec, exec, s[6:7]
	v_mov_b32_e32 v64, 19
	v_mul_lo_u16_sdwa v65, v246, v64 dst_sel:DWORD dst_unused:UNUSED_PAD src0_sel:BYTE_0 src1_sel:DWORD
	v_lshrrev_b16_e32 v95, 10, v65
	v_mul_lo_u16_e32 v65, 54, v95
	v_sub_u16_e32 v65, v246, v65
	v_and_b32_e32 v229, 0xff, v65
	s_movk_i32 s16, 0x60
	v_mov_b64_e32 v[68:69], s[0:1]
	v_mad_u64_u32 v[70:71], s[6:7], v229, s16, v[68:69]
	global_load_dwordx4 v[164:167], v[70:71], off offset:880
	global_load_dwordx4 v[168:171], v[70:71], off offset:864
	;; [unrolled: 1-line block ×4, first 2 shown]
	s_mov_b32 s20, 0xe976ee23
	s_mov_b32 s18, 0x429ad128
	;; [unrolled: 1-line block ×16, first 2 shown]
	s_waitcnt vmcnt(1) lgkmcnt(9)
	v_mul_f64 v[224:225], v[180:181], v[174:175]
	s_waitcnt vmcnt(0)
	v_mul_f64 v[72:73], v[186:187], v[178:179]
	v_mul_f64 v[220:221], v[184:185], v[178:179]
	v_fma_f64 v[218:219], v[184:185], v[176:177], -v[72:73]
	v_fmac_f64_e32 v[220:221], v[186:187], v[176:177]
	global_load_dwordx4 v[184:187], v[70:71], off offset:912
	global_load_dwordx4 v[188:191], v[70:71], off offset:896
	v_mul_f64 v[72:73], v[182:183], v[174:175]
	v_fma_f64 v[222:223], v[180:181], v[172:173], -v[72:73]
	s_waitcnt lgkmcnt(7)
	v_mul_f64 v[72:73], v[54:55], v[170:171]
	v_fma_f64 v[226:227], v[52:53], v[168:169], -v[72:73]
	v_mul_f64 v[52:53], v[52:53], v[170:171]
	v_fmac_f64_e32 v[52:53], v[54:55], v[168:169]
	s_waitcnt lgkmcnt(5)
	v_mul_f64 v[54:55], v[50:51], v[166:167]
	v_fma_f64 v[54:55], v[48:49], v[164:165], -v[54:55]
	v_mul_f64 v[48:49], v[48:49], v[166:167]
	v_fmac_f64_e32 v[48:49], v[50:51], v[164:165]
	v_fmac_f64_e32 v[224:225], v[182:183], v[172:173]
	s_waitcnt vmcnt(1) lgkmcnt(1)
	v_mul_f64 v[234:235], v[44:45], v[186:187]
	s_waitcnt vmcnt(0)
	v_mul_f64 v[50:51], v[162:163], v[190:191]
	v_fma_f64 v[232:233], v[160:161], v[188:189], -v[50:51]
	v_mul_f64 v[160:161], v[160:161], v[190:191]
	v_mul_f64 v[50:51], v[46:47], v[186:187]
	v_fmac_f64_e32 v[160:161], v[162:163], v[188:189]
	v_fma_f64 v[162:163], v[44:45], v[184:185], -v[50:51]
	v_mul_lo_u16_sdwa v44, v230, v64 dst_sel:DWORD dst_unused:UNUSED_PAD src0_sel:BYTE_0 src1_sel:DWORD
	v_lshrrev_b16_e32 v231, 10, v44
	v_mul_lo_u16_e32 v44, 54, v231
	v_sub_u16_e32 v44, v230, v44
	v_and_b32_e32 v244, 0xff, v44
	v_mad_u64_u32 v[68:69], s[6:7], v244, s16, v[68:69]
	global_load_dwordx4 v[192:195], v[68:69], off offset:880
	global_load_dwordx4 v[196:199], v[68:69], off offset:864
	;; [unrolled: 1-line block ×6, first 2 shown]
	v_fmac_f64_e32 v[234:235], v[46:47], v[184:185]
	s_mov_b32 s16, 0x37e14327
	s_mov_b32 s6, 0x36b3c0b5
	;; [unrolled: 1-line block ×4, first 2 shown]
	s_waitcnt vmcnt(4)
	v_mul_f64 v[70:71], v[42:43], v[198:199]
	s_waitcnt vmcnt(3)
	v_mul_f64 v[50:51], v[154:155], v[202:203]
	v_fma_f64 v[50:51], v[152:153], v[200:201], -v[50:51]
	v_mul_f64 v[152:153], v[152:153], v[202:203]
	v_fmac_f64_e32 v[152:153], v[154:155], v[200:201]
	v_fma_f64 v[154:155], v[40:41], v[196:197], -v[70:71]
	v_mul_f64 v[40:41], v[40:41], v[198:199]
	v_fmac_f64_e32 v[40:41], v[42:43], v[196:197]
	v_mul_f64 v[42:43], v[38:39], v[194:195]
	v_fma_f64 v[42:43], v[36:37], v[192:193], -v[42:43]
	v_mul_f64 v[36:37], v[36:37], v[194:195]
	s_waitcnt vmcnt(2)
	v_mul_f64 v[44:45], v[158:159], v[210:211]
	v_fmac_f64_e32 v[36:37], v[38:39], v[192:193]
	s_waitcnt vmcnt(0)
	v_mul_f64 v[38:39], v[150:151], v[214:215]
	v_fma_f64 v[44:45], v[156:157], v[208:209], -v[44:45]
	v_mul_f64 v[46:47], v[156:157], v[210:211]
	v_fma_f64 v[156:157], v[148:149], v[212:213], -v[38:39]
	s_waitcnt lgkmcnt(0)
	v_mul_f64 v[38:39], v[146:147], v[206:207]
	v_fma_f64 v[236:237], v[144:145], v[204:205], -v[38:39]
	v_lshrrev_b16_e32 v38, 1, v228
	v_mul_u32_u24_e32 v38, 0x97b5, v38
	v_lshrrev_b32_e32 v38, 20, v38
	v_mul_lo_u16_e32 v38, 54, v38
	v_sub_u16_e32 v245, v228, v38
	v_mul_lo_u16_e32 v216, 0x60, v245
	v_lshl_add_u64 v[68:69], s[0:1], 0, v[216:217]
	global_load_dwordx4 v[64:67], v[68:69], off offset:880
	global_load_dwordx4 v[70:73], v[68:69], off offset:864
	;; [unrolled: 1-line block ×4, first 2 shown]
	v_mul_f64 v[238:239], v[144:145], v[206:207]
	v_fmac_f64_e32 v[46:47], v[158:159], v[208:209]
	v_mul_f64 v[158:159], v[148:149], v[214:215]
	v_fmac_f64_e32 v[238:239], v[146:147], v[204:205]
	v_fmac_f64_e32 v[158:159], v[150:151], v[212:213]
	s_waitcnt vmcnt(3)
	v_accvgpr_write_b32 a111, v67
	v_accvgpr_write_b32 a110, v66
	s_waitcnt vmcnt(1)
	v_mul_f64 v[148:149], v[24:25], v[76:77]
	s_waitcnt vmcnt(0)
	v_mul_f64 v[38:39], v[2:3], v[80:81]
	v_fma_f64 v[38:39], v[0:1], v[78:79], -v[38:39]
	v_mul_f64 v[144:145], v[0:1], v[80:81]
	v_mul_f64 v[0:1], v[26:27], v[76:77]
	v_fma_f64 v[146:147], v[24:25], v[74:75], -v[0:1]
	v_mul_f64 v[0:1], v[30:31], v[72:73]
	v_fma_f64 v[150:151], v[28:29], v[70:71], -v[0:1]
	v_mul_f64 v[28:29], v[28:29], v[72:73]
	v_mul_f64 v[0:1], v[34:35], v[66:67]
	v_fmac_f64_e32 v[28:29], v[30:31], v[70:71]
	v_fma_f64 v[30:31], v[32:33], v[64:65], -v[0:1]
	v_mul_f64 v[32:33], v[32:33], v[66:67]
	v_fmac_f64_e32 v[148:149], v[26:27], v[74:75]
	v_accvgpr_write_b32 a109, v65
	v_accvgpr_write_b32 a108, v64
	v_fmac_f64_e32 v[32:33], v[34:35], v[64:65]
	global_load_dwordx4 v[24:27], v[68:69], off offset:912
	global_load_dwordx4 v[64:67], v[68:69], off offset:896
	v_accvgpr_write_b32 a115, v73
	v_accvgpr_write_b32 a123, v81
	v_fmac_f64_e32 v[144:145], v[2:3], v[78:79]
	v_accvgpr_write_b32 a119, v77
	v_accvgpr_write_b32 a114, v72
	;; [unrolled: 1-line block ×4, first 2 shown]
	v_add_f64 v[2:3], v[220:221], v[234:235]
	v_add_f64 v[68:69], v[226:227], v[54:55]
	;; [unrolled: 1-line block ×3, first 2 shown]
	v_add_f64 v[54:55], v[54:55], -v[226:227]
	v_add_f64 v[48:49], v[48:49], -v[52:53]
	v_accvgpr_write_b32 a122, v80
	v_accvgpr_write_b32 a121, v79
	;; [unrolled: 1-line block ×6, first 2 shown]
	v_add_f64 v[80:81], v[2:3], -v[70:71]
	s_barrier
	s_waitcnt vmcnt(1)
	v_mul_f64 v[242:243], v[20:21], v[26:27]
	s_waitcnt vmcnt(0)
	v_mul_f64 v[0:1], v[18:19], v[66:67]
	v_fma_f64 v[34:35], v[16:17], v[64:65], -v[0:1]
	v_mul_f64 v[0:1], v[22:23], v[26:27]
	v_fma_f64 v[240:241], v[20:21], v[24:25], -v[0:1]
	v_accvgpr_write_b32 a127, v27
	v_add_f64 v[0:1], v[218:219], v[162:163]
	v_add_f64 v[20:21], v[222:223], v[232:233]
	v_accvgpr_write_b32 a126, v26
	v_accvgpr_write_b32 a125, v25
	;; [unrolled: 1-line block ×3, first 2 shown]
	v_fmac_f64_e32 v[242:243], v[22:23], v[24:25]
	v_add_f64 v[22:23], v[224:225], v[160:161]
	v_add_f64 v[24:25], v[222:223], -v[232:233]
	v_add_f64 v[52:53], v[20:21], v[0:1]
	v_mul_f64 v[216:217], v[16:17], v[66:67]
	v_add_f64 v[16:17], v[218:219], -v[162:163]
	v_add_f64 v[26:27], v[224:225], -v[160:161]
	v_add_f64 v[72:73], v[22:23], v[2:3]
	v_add_f64 v[74:75], v[20:21], -v[0:1]
	v_add_f64 v[78:79], v[0:1], -v[68:69]
	v_add_f64 v[0:1], v[54:55], v[24:25]
	v_add_f64 v[52:53], v[68:69], v[52:53]
	v_fmac_f64_e32 v[216:217], v[18:19], v[64:65]
	v_add_f64 v[18:19], v[220:221], -v[234:235]
	v_add_f64 v[76:77], v[22:23], -v[2:3]
	;; [unrolled: 1-line block ×3, first 2 shown]
	v_add_f64 v[2:3], v[48:49], v[26:27]
	v_add_f64 v[82:83], v[54:55], -v[24:25]
	v_add_f64 v[54:55], v[16:17], -v[54:55]
	v_add_f64 v[24:25], v[24:25], -v[16:17]
	v_add_f64 v[68:69], v[70:71], v[72:73]
	v_add_f64 v[16:17], v[0:1], v[16:17]
	;; [unrolled: 1-line block ×3, first 2 shown]
	v_add_f64 v[22:23], v[70:71], -v[22:23]
	v_add_f64 v[160:161], v[48:49], -v[26:27]
	v_add_f64 v[48:49], v[18:19], -v[48:49]
	v_add_f64 v[26:27], v[26:27], -v[18:19]
	v_add_f64 v[18:19], v[2:3], v[18:19]
	v_add_f64 v[2:3], v[14:15], v[68:69]
	v_mov_b64_e32 v[162:163], v[0:1]
	v_mul_f64 v[12:13], v[78:79], s[16:17]
	v_mul_f64 v[14:15], v[80:81], s[16:17]
	;; [unrolled: 1-line block ×7, first 2 shown]
	v_fmac_f64_e32 v[162:163], s[22:23], v[52:53]
	v_mov_b64_e32 v[52:53], v[2:3]
	v_mul_f64 v[82:83], v[24:25], s[18:19]
	v_fmac_f64_e32 v[52:53], s[22:23], v[68:69]
	v_fma_f64 v[68:69], v[74:75], s[24:25], -v[70:71]
	v_fma_f64 v[70:71], v[76:77], s[24:25], -v[72:73]
	;; [unrolled: 1-line block ×5, first 2 shown]
	v_fmac_f64_e32 v[80:81], s[28:29], v[48:49]
	v_fma_f64 v[48:49], v[48:49], s[34:35], -v[160:161]
	v_fmac_f64_e32 v[12:13], s[6:7], v[20:21]
	v_fma_f64 v[20:21], v[76:77], s[26:27], -v[14:15]
	v_fmac_f64_e32 v[14:15], s[6:7], v[22:23]
	v_fmac_f64_e32 v[78:79], s[28:29], v[54:55]
	v_fma_f64 v[54:55], v[54:55], s[34:35], -v[82:83]
	v_add_f64 v[26:27], v[68:69], v[162:163]
	v_add_f64 v[68:69], v[70:71], v[52:53]
	;; [unrolled: 1-line block ×3, first 2 shown]
	v_fmac_f64_e32 v[48:49], s[30:31], v[18:19]
	v_add_f64 v[76:77], v[12:13], v[162:163]
	v_add_f64 v[82:83], v[14:15], v[52:53]
	;; [unrolled: 1-line block ×3, first 2 shown]
	v_fmac_f64_e32 v[78:79], s[30:31], v[16:17]
	v_fmac_f64_e32 v[80:81], s[30:31], v[18:19]
	v_fmac_f64_e32 v[74:75], s[30:31], v[16:17]
	v_fmac_f64_e32 v[24:25], s[30:31], v[18:19]
	v_fmac_f64_e32 v[54:55], s[30:31], v[16:17]
	v_add_f64 v[16:17], v[48:49], v[70:71]
	v_add_f64 v[52:53], v[70:71], -v[48:49]
	v_add_f64 v[48:49], v[44:45], v[236:237]
	v_add_f64 v[70:71], v[50:51], v[156:157]
	;; [unrolled: 1-line block ×3, first 2 shown]
	v_add_f64 v[14:15], v[82:83], -v[78:79]
	v_add_f64 v[18:19], v[72:73], -v[54:55]
	;; [unrolled: 1-line block ×3, first 2 shown]
	v_add_f64 v[22:23], v[74:75], v[68:69]
	v_add_f64 v[24:25], v[24:25], v[26:27]
	v_add_f64 v[26:27], v[68:69], -v[74:75]
	v_add_f64 v[54:55], v[54:55], v[72:73]
	v_add_f64 v[160:161], v[76:77], -v[80:81]
	v_add_f64 v[162:163], v[78:79], v[82:83]
	v_add_f64 v[68:69], v[46:47], v[238:239]
	;; [unrolled: 1-line block ×5, first 2 shown]
	v_add_f64 v[36:37], v[36:37], -v[40:41]
	v_add_f64 v[40:41], v[70:71], v[48:49]
	v_add_f64 v[50:51], v[50:51], -v[156:157]
	v_add_f64 v[42:43], v[42:43], -v[154:155]
	v_add_f64 v[80:81], v[72:73], v[68:69]
	v_add_f64 v[82:83], v[70:71], -v[48:49]
	v_add_f64 v[48:49], v[48:49], -v[76:77]
	;; [unrolled: 1-line block ×3, first 2 shown]
	v_add_f64 v[76:77], v[76:77], v[40:41]
	v_add_f64 v[44:45], v[44:45], -v[236:237]
	v_add_f64 v[74:75], v[152:153], -v[158:159]
	;; [unrolled: 1-line block ×6, first 2 shown]
	v_add_f64 v[78:79], v[78:79], v[80:81]
	v_add_f64 v[40:41], v[8:9], v[76:77]
	v_add_f64 v[46:47], v[46:47], -v[238:239]
	v_add_f64 v[154:155], v[42:43], v[50:51]
	v_add_f64 v[180:181], v[36:37], -v[74:75]
	v_add_f64 v[182:183], v[44:45], -v[42:43]
	;; [unrolled: 1-line block ×3, first 2 shown]
	v_add_f64 v[42:43], v[10:11], v[78:79]
	v_mul_f64 v[80:81], v[158:159], s[20:21]
	v_mov_b64_e32 v[158:159], v[40:41]
	v_add_f64 v[156:157], v[36:37], v[74:75]
	v_add_f64 v[36:37], v[46:47], -v[36:37]
	v_add_f64 v[74:75], v[74:75], -v[46:47]
	v_add_f64 v[44:45], v[154:155], v[44:45]
	v_mul_f64 v[8:9], v[48:49], s[16:17]
	v_mul_f64 v[10:11], v[68:69], s[16:17]
	v_mul_f64 v[48:49], v[70:71], s[6:7]
	v_mul_f64 v[68:69], v[72:73], s[6:7]
	v_mul_f64 v[180:181], v[180:181], s[20:21]
	v_mul_f64 v[154:155], v[50:51], s[18:19]
	v_fmac_f64_e32 v[158:159], s[22:23], v[76:77]
	v_mov_b64_e32 v[76:77], v[42:43]
	v_add_f64 v[46:47], v[156:157], v[46:47]
	v_mul_f64 v[156:157], v[74:75], s[18:19]
	v_fmac_f64_e32 v[76:77], s[22:23], v[78:79]
	v_fma_f64 v[48:49], v[82:83], s[24:25], -v[48:49]
	v_fma_f64 v[68:69], v[152:153], s[24:25], -v[68:69]
	;; [unrolled: 1-line block ×3, first 2 shown]
	v_fmac_f64_e32 v[8:9], s[6:7], v[70:71]
	v_fma_f64 v[70:71], v[152:153], s[26:27], -v[10:11]
	v_fmac_f64_e32 v[10:11], s[6:7], v[72:73]
	v_fma_f64 v[72:73], v[50:51], s[18:19], -v[80:81]
	;; [unrolled: 2-line block ×4, first 2 shown]
	v_fma_f64 v[36:37], v[36:37], s[34:35], -v[156:157]
	v_add_f64 v[8:9], v[8:9], v[158:159]
	v_add_f64 v[10:11], v[10:11], v[76:77]
	;; [unrolled: 1-line block ×4, first 2 shown]
	v_fmac_f64_e32 v[80:81], s[30:31], v[44:45]
	v_fmac_f64_e32 v[180:181], s[30:31], v[46:47]
	;; [unrolled: 1-line block ×4, first 2 shown]
	v_add_f64 v[156:157], v[48:49], v[158:159]
	v_add_f64 v[78:79], v[78:79], v[158:159]
	v_fmac_f64_e32 v[74:75], s[30:31], v[46:47]
	v_fmac_f64_e32 v[36:37], s[30:31], v[46:47]
	v_add_f64 v[44:45], v[180:181], v[8:9]
	v_add_f64 v[46:47], v[10:11], -v[80:81]
	v_add_f64 v[50:51], v[70:71], -v[82:83]
	v_add_f64 v[154:155], v[72:73], v[68:69]
	v_add_f64 v[158:159], v[68:69], -v[72:73]
	v_add_f64 v[220:221], v[82:83], v[70:71]
	;; [unrolled: 2-line block ×3, first 2 shown]
	v_add_f64 v[8:9], v[38:39], v[240:241]
	v_add_f64 v[10:11], v[144:145], v[242:243]
	;; [unrolled: 1-line block ×5, first 2 shown]
	v_add_f64 v[152:153], v[156:157], -v[74:75]
	v_add_f64 v[156:157], v[74:75], v[156:157]
	v_add_f64 v[218:219], v[78:79], -v[36:37]
	v_add_f64 v[36:37], v[38:39], -v[240:241]
	;; [unrolled: 1-line block ×3, first 2 shown]
	v_add_f64 v[74:75], v[150:151], v[30:31]
	v_add_f64 v[76:77], v[28:29], v[32:33]
	v_add_f64 v[30:31], v[30:31], -v[150:151]
	v_add_f64 v[28:29], v[32:33], -v[28:29]
	v_add_f64 v[32:33], v[68:69], v[8:9]
	v_add_f64 v[78:79], v[70:71], v[10:11]
	v_add_f64 v[38:39], v[144:145], -v[242:243]
	v_add_f64 v[72:73], v[148:149], -v[216:217]
	;; [unrolled: 1-line block ×8, first 2 shown]
	v_add_f64 v[144:145], v[30:31], v[34:35]
	v_add_f64 v[148:149], v[30:31], -v[34:35]
	v_add_f64 v[34:35], v[34:35], -v[36:37]
	v_add_f64 v[32:33], v[74:75], v[32:33]
	v_add_f64 v[74:75], v[76:77], v[78:79]
	v_add_f64 v[146:147], v[28:29], v[72:73]
	v_add_f64 v[150:151], v[28:29], -v[72:73]
	v_add_f64 v[30:31], v[36:37], -v[30:31]
	;; [unrolled: 1-line block ×3, first 2 shown]
	v_add_f64 v[36:37], v[144:145], v[36:37]
	v_add_f64 v[4:5], v[4:5], v[32:33]
	;; [unrolled: 1-line block ×3, first 2 shown]
	v_mul_f64 v[8:9], v[8:9], s[16:17]
	v_mul_f64 v[10:11], v[10:11], s[16:17]
	;; [unrolled: 1-line block ×6, first 2 shown]
	v_add_f64 v[28:29], v[38:39], -v[28:29]
	v_add_f64 v[38:39], v[146:147], v[38:39]
	v_mul_f64 v[146:147], v[150:151], s[20:21]
	v_mul_f64 v[150:151], v[72:73], s[18:19]
	v_fma_f64 v[32:33], s[22:23], v[32:33], v[4:5]
	v_fma_f64 v[74:75], s[22:23], v[74:75], v[6:7]
	;; [unrolled: 1-line block ×3, first 2 shown]
	v_fma_f64 v[76:77], v[80:81], s[24:25], -v[76:77]
	v_fma_f64 v[78:79], v[82:83], s[24:25], -v[78:79]
	;; [unrolled: 1-line block ×5, first 2 shown]
	v_fmac_f64_e32 v[10:11], s[6:7], v[70:71]
	v_fma_f64 v[70:71], s[28:29], v[30:31], v[144:145]
	v_fma_f64 v[34:35], v[34:35], s[18:19], -v[144:145]
	v_fma_f64 v[72:73], v[72:73], s[18:19], -v[146:147]
	v_fmac_f64_e32 v[146:147], s[28:29], v[28:29]
	v_fma_f64 v[144:145], v[28:29], s[34:35], -v[150:151]
	v_add_f64 v[68:69], v[68:69], v[32:33]
	v_add_f64 v[76:77], v[76:77], v[32:33]
	;; [unrolled: 1-line block ×4, first 2 shown]
	v_fmac_f64_e32 v[82:83], s[30:31], v[36:37]
	v_fmac_f64_e32 v[146:147], s[30:31], v[38:39]
	v_fmac_f64_e32 v[72:73], s[30:31], v[38:39]
	v_fmac_f64_e32 v[144:145], s[30:31], v[38:39]
	v_add_f64 v[38:39], v[32:33], -v[82:83]
	v_add_f64 v[78:79], v[78:79], v[74:75]
	v_fmac_f64_e32 v[70:71], s[30:31], v[36:37]
	v_fmac_f64_e32 v[34:35], s[30:31], v[36:37]
	v_add_f64 v[36:37], v[144:145], v[8:9]
	v_accvgpr_write_b32 a141, v39
	v_add_f64 v[10:11], v[10:11], v[74:75]
	v_accvgpr_write_b32 a140, v38
	v_accvgpr_write_b32 a139, v37
	;; [unrolled: 1-line block ×3, first 2 shown]
	v_add_f64 v[38:39], v[34:35], v[78:79]
	v_add_f64 v[30:31], v[10:11], -v[70:71]
	v_add_f64 v[36:37], v[76:77], -v[72:73]
	v_accvgpr_write_b32 a145, v39
	v_add_f64 v[10:11], v[70:71], v[10:11]
	v_accvgpr_write_b32 a144, v38
	v_accvgpr_write_b32 a143, v37
	;; [unrolled: 1-line block ×3, first 2 shown]
	v_add_f64 v[38:39], v[78:79], -v[34:35]
	v_add_f64 v[34:35], v[8:9], -v[144:145]
	;; [unrolled: 1-line block ×3, first 2 shown]
	v_accvgpr_write_b32 a157, v11
	v_accvgpr_write_b32 a156, v10
	;; [unrolled: 1-line block ×4, first 2 shown]
	v_mul_u32_u24_e32 v8, 0x17a, v95
	v_add_f64 v[36:37], v[72:73], v[76:77]
	v_accvgpr_write_b32 a149, v39
	v_add_lshl_u32 v95, v8, v229, 4
	v_accvgpr_write_b32 a148, v38
	v_accvgpr_write_b32 a147, v37
	;; [unrolled: 1-line block ×3, first 2 shown]
	v_add_f64 v[36:37], v[82:83], v[32:33]
	ds_write_b128 v95, v[0:3]
	ds_write_b128 v95, v[12:15] offset:864
	ds_write_b128 v95, v[16:19] offset:1728
	;; [unrolled: 1-line block ×6, first 2 shown]
	v_mul_u32_u24_e32 v0, 0x17a, v231
	v_accvgpr_write_b32 a135, v67
	v_accvgpr_write_b32 a153, v37
	v_add_lshl_u32 v8, v0, v244, 4
	v_lshlrev_b32_e32 v0, 4, v245
	v_accvgpr_write_b32 a134, v66
	v_accvgpr_write_b32 a133, v65
	;; [unrolled: 1-line block ×3, first 2 shown]
	v_add_f64 v[28:29], v[146:147], v[68:69]
	v_accvgpr_write_b32 a152, v36
	v_accvgpr_write_b32 a151, v35
	;; [unrolled: 1-line block ×4, first 2 shown]
	ds_write_b128 v8, v[40:43]
	ds_write_b128 v8, v[44:47] offset:864
	ds_write_b128 v8, v[48:51] offset:1728
	;; [unrolled: 1-line block ×6, first 2 shown]
	s_and_saveexec_b64 s[6:7], s[2:3]
	s_cbranch_execz .LBB0_11
; %bb.10:
	v_accvgpr_read_b32 v0, a136
	ds_write_b128 v0, v[4:7] offset:24192
	ds_write_b128 v0, v[28:31] offset:25056
	;; [unrolled: 1-line block ×7, first 2 shown]
.LBB0_11:
	s_or_b64 exec, exec, s[6:7]
	v_lshlrev_b32_e32 v12, 4, v246
	v_mov_b32_e32 v13, 0
	v_lshl_add_u64 v[156:157], s[14:15], 0, v[12:13]
	v_lshlrev_b32_e32 v12, 6, v246
	v_lshl_add_u64 v[0:1], s[0:1], 0, v[12:13]
	s_movk_i32 s14, 0x1000
	s_mov_b64 s[6:7], 0x1780
	v_add_co_u32_e32 v2, vcc, s14, v0
	v_lshlrev_b32_e32 v12, 6, v230
	s_nop 0
	v_addc_co_u32_e32 v3, vcc, 0, v1, vcc
	v_lshl_add_u64 v[0:1], v[0:1], 0, s[6:7]
	s_waitcnt lgkmcnt(0)
	s_barrier
	global_load_dwordx4 v[216:219], v[2:3], off offset:1920
	global_load_dwordx4 v[232:235], v[0:1], off offset:16
	;; [unrolled: 1-line block ×4, first 2 shown]
	v_lshl_add_u64 v[0:1], s[0:1], 0, v[12:13]
	v_add_co_u32_e32 v2, vcc, s14, v0
	v_lshl_add_u64 v[10:11], v[0:1], 0, s[6:7]
	s_nop 0
	v_addc_co_u32_e32 v3, vcc, 0, v1, vcc
	v_lshlrev_b32_e32 v12, 6, v228
	v_accvgpr_write_b32 a24, v246
	global_load_dwordx4 v[244:247], v[2:3], off offset:1920
	global_load_dwordx4 v[4:7], v[10:11], off offset:16
	s_nop 0
	global_load_dwordx4 v[0:3], v[10:11], off offset:32
	global_load_dwordx4 v[252:255], v[10:11], off offset:48
	v_lshl_add_u64 v[10:11], s[0:1], 0, v[12:13]
	v_add_co_u32_e32 v12, vcc, s14, v10
	s_mov_b32 s0, 0x4755a5e
	s_nop 0
	v_addc_co_u32_e32 v13, vcc, 0, v11, vcc
	global_load_dwordx4 v[12:15], v[12:13], off offset:1920
	v_lshl_add_u64 v[10:11], v[10:11], 0, s[6:7]
	global_load_dwordx4 v[24:27], v[10:11], off offset:16
	global_load_dwordx4 v[20:23], v[10:11], off offset:32
	;; [unrolled: 1-line block ×3, first 2 shown]
	ds_read_b128 v[44:47], v94
	ds_read_b128 v[40:43], v94 offset:2016
	ds_read_b128 v[32:35], v94 offset:12096
	;; [unrolled: 1-line block ×14, first 2 shown]
	s_mov_b32 s6, 0x134454ff
	s_mov_b32 s7, 0x3fee6f0e
	s_mov_b32 s17, 0xbfee6f0e
	s_mov_b32 s16, s6
	s_mov_b32 s1, 0x3fe2cf23
	s_mov_b32 s14, 0x372fe950
	s_mov_b32 s19, 0xbfe2cf23
	s_mov_b32 s18, s0
	s_mov_b32 s15, 0x3fd3c6ef
	s_waitcnt vmcnt(10) lgkmcnt(12)
	v_mul_f64 v[76:77], v[32:33], v[234:235]
	v_mul_f64 v[74:75], v[34:35], v[234:235]
	s_waitcnt vmcnt(8) lgkmcnt(10)
	v_mul_f64 v[84:85], v[52:53], v[222:223]
	v_mul_f64 v[82:83], v[54:55], v[222:223]
	v_fmac_f64_e32 v[84:85], v[54:55], v[220:221]
	v_fmac_f64_e32 v[76:77], v[34:35], v[232:233]
	s_waitcnt lgkmcnt(4)
	v_mul_f64 v[78:79], v[230:231], v[226:227]
	v_mul_f64 v[10:11], v[150:151], v[218:219]
	;; [unrolled: 1-line block ×3, first 2 shown]
	v_fma_f64 v[78:79], v[228:229], v[224:225], -v[78:79]
	s_waitcnt vmcnt(6)
	v_mul_f64 v[54:55], v[50:51], v[6:7]
	v_mul_f64 v[34:35], v[48:49], v[6:7]
	v_fma_f64 v[90:91], v[48:49], v[4:5], -v[54:55]
	v_fma_f64 v[10:11], v[148:149], v[216:217], -v[10:11]
	v_fmac_f64_e32 v[80:81], v[230:231], v[224:225]
	v_fma_f64 v[74:75], v[32:33], v[232:233], -v[74:75]
	v_mul_f64 v[72:73], v[148:149], v[218:219]
	v_fma_f64 v[82:83], v[52:53], v[220:221], -v[82:83]
	v_mul_f64 v[52:53], v[154:155], v[246:247]
	s_waitcnt vmcnt(3)
	v_mul_f64 v[48:49], v[160:161], v[14:15]
	v_fma_f64 v[162:163], v[158:159], v[12:13], -v[48:49]
	s_waitcnt vmcnt(2) lgkmcnt(3)
	v_mul_f64 v[48:49], v[242:243], v[26:27]
	v_fma_f64 v[228:229], v[240:241], v[24:25], -v[48:49]
	s_waitcnt vmcnt(1) lgkmcnt(1)
	;; [unrolled: 3-line block ×3, first 2 shown]
	v_mul_f64 v[48:49], v[70:71], v[18:19]
	v_fma_f64 v[236:237], v[68:69], v[16:17], -v[48:49]
	v_add_f64 v[48:49], v[44:45], v[10:11]
	v_add_f64 v[48:49], v[48:49], v[74:75]
	;; [unrolled: 1-line block ×3, first 2 shown]
	v_fmac_f64_e32 v[72:73], v[150:151], v[216:217]
	v_fma_f64 v[88:89], v[152:153], v[244:245], -v[52:53]
	v_add_f64 v[52:53], v[48:49], v[82:83]
	v_add_f64 v[48:49], v[74:75], v[78:79]
	v_mul_f64 v[32:33], v[152:153], v[246:247]
	v_mul_f64 v[238:239], v[248:249], v[2:3]
	;; [unrolled: 1-line block ×3, first 2 shown]
	v_fmac_f64_e32 v[34:35], v[50:51], v[4:5]
	v_mul_f64 v[152:153], v[158:159], v[14:15]
	v_fma_f64 v[48:49], -0.5, v[48:49], v[44:45]
	v_add_f64 v[50:51], v[72:73], -v[84:85]
	v_mul_f64 v[86:87], v[250:251], v[2:3]
	v_fmac_f64_e32 v[238:239], v[250:251], v[0:1]
	v_fma_f64 v[250:251], v[144:145], v[252:253], -v[148:149]
	v_mul_f64 v[64:65], v[144:145], v[254:255]
	v_fmac_f64_e32 v[152:153], v[160:161], v[12:13]
	v_mul_f64 v[160:161], v[68:69], v[18:19]
	v_fma_f64 v[144:145], s[6:7], v[50:51], v[48:49]
	v_add_f64 v[54:55], v[76:77], -v[80:81]
	v_add_f64 v[66:67], v[10:11], -v[74:75]
	;; [unrolled: 1-line block ×3, first 2 shown]
	v_fmac_f64_e32 v[48:49], s[16:17], v[50:51]
	v_fmac_f64_e32 v[144:145], s[0:1], v[54:55]
	v_add_f64 v[66:67], v[66:67], v[68:69]
	v_fmac_f64_e32 v[48:49], s[18:19], v[54:55]
	v_fmac_f64_e32 v[144:145], s[14:15], v[66:67]
	;; [unrolled: 1-line block ×3, first 2 shown]
	v_add_f64 v[66:67], v[10:11], v[82:83]
	v_fmac_f64_e32 v[44:45], -0.5, v[66:67]
	v_fma_f64 v[148:149], s[16:17], v[54:55], v[44:45]
	v_fmac_f64_e32 v[44:45], s[6:7], v[54:55]
	v_fmac_f64_e32 v[148:149], s[0:1], v[50:51]
	v_fmac_f64_e32 v[44:45], s[18:19], v[50:51]
	v_add_f64 v[50:51], v[46:47], v[72:73]
	v_add_f64 v[50:51], v[50:51], v[76:77]
	v_add_f64 v[50:51], v[50:51], v[80:81]
	v_add_f64 v[66:67], v[74:75], -v[10:11]
	v_add_f64 v[68:69], v[78:79], -v[82:83]
	v_add_f64 v[54:55], v[50:51], v[84:85]
	v_add_f64 v[50:51], v[76:77], v[80:81]
	;; [unrolled: 1-line block ×3, first 2 shown]
	v_fma_f64 v[50:51], -0.5, v[50:51], v[46:47]
	v_add_f64 v[10:11], v[10:11], -v[82:83]
	v_fmac_f64_e32 v[64:65], v[146:147], v[252:253]
	v_fmac_f64_e32 v[160:161], v[70:71], v[16:17]
	;; [unrolled: 1-line block ×4, first 2 shown]
	v_fma_f64 v[146:147], s[16:17], v[10:11], v[50:51]
	v_add_f64 v[66:67], v[74:75], -v[78:79]
	v_add_f64 v[68:69], v[72:73], -v[76:77]
	;; [unrolled: 1-line block ×3, first 2 shown]
	v_fmac_f64_e32 v[50:51], s[6:7], v[10:11]
	v_fmac_f64_e32 v[146:147], s[18:19], v[66:67]
	v_add_f64 v[68:69], v[68:69], v[70:71]
	v_fmac_f64_e32 v[50:51], s[0:1], v[66:67]
	v_fmac_f64_e32 v[146:147], s[14:15], v[68:69]
	;; [unrolled: 1-line block ×3, first 2 shown]
	v_add_f64 v[68:69], v[72:73], v[84:85]
	v_fmac_f64_e32 v[46:47], -0.5, v[68:69]
	v_fma_f64 v[150:151], s[6:7], v[66:67], v[46:47]
	v_fmac_f64_e32 v[46:47], s[16:17], v[66:67]
	v_fmac_f64_e32 v[150:151], s[18:19], v[10:11]
	;; [unrolled: 1-line block ×3, first 2 shown]
	v_add_f64 v[10:11], v[40:41], v[88:89]
	v_fma_f64 v[86:87], v[248:249], v[0:1], -v[86:87]
	v_add_f64 v[68:69], v[76:77], -v[72:73]
	v_add_f64 v[70:71], v[80:81], -v[84:85]
	v_add_f64 v[10:11], v[10:11], v[90:91]
	v_add_f64 v[68:69], v[68:69], v[70:71]
	v_add_f64 v[10:11], v[10:11], v[86:87]
	v_fmac_f64_e32 v[32:33], v[154:155], v[244:245]
	v_fmac_f64_e32 v[150:151], s[14:15], v[68:69]
	;; [unrolled: 1-line block ×3, first 2 shown]
	v_add_f64 v[68:69], v[10:11], v[250:251]
	v_add_f64 v[10:11], v[90:91], v[86:87]
	v_mul_f64 v[158:159], v[180:181], v[22:23]
	v_fma_f64 v[180:181], -0.5, v[10:11], v[40:41]
	v_add_f64 v[10:11], v[32:33], -v[64:65]
	v_mul_f64 v[154:155], v[240:241], v[26:27]
	v_fma_f64 v[240:241], s[6:7], v[10:11], v[180:181]
	v_add_f64 v[66:67], v[34:35], -v[238:239]
	v_add_f64 v[70:71], v[88:89], -v[90:91]
	;; [unrolled: 1-line block ×3, first 2 shown]
	v_fmac_f64_e32 v[180:181], s[16:17], v[10:11]
	v_fmac_f64_e32 v[240:241], s[0:1], v[66:67]
	v_add_f64 v[70:71], v[70:71], v[72:73]
	v_fmac_f64_e32 v[180:181], s[18:19], v[66:67]
	v_fmac_f64_e32 v[240:241], s[14:15], v[70:71]
	;; [unrolled: 1-line block ×3, first 2 shown]
	v_add_f64 v[70:71], v[88:89], v[250:251]
	v_fmac_f64_e32 v[40:41], -0.5, v[70:71]
	v_fma_f64 v[248:249], s[16:17], v[66:67], v[40:41]
	v_fmac_f64_e32 v[40:41], s[6:7], v[66:67]
	v_fmac_f64_e32 v[248:249], s[0:1], v[10:11]
	;; [unrolled: 1-line block ×3, first 2 shown]
	v_add_f64 v[10:11], v[42:43], v[32:33]
	v_add_f64 v[70:71], v[90:91], -v[88:89]
	v_add_f64 v[72:73], v[86:87], -v[250:251]
	v_add_f64 v[10:11], v[10:11], v[34:35]
	v_add_f64 v[70:71], v[70:71], v[72:73]
	v_add_f64 v[10:11], v[10:11], v[238:239]
	v_fmac_f64_e32 v[248:249], s[14:15], v[70:71]
	v_fmac_f64_e32 v[40:41], s[14:15], v[70:71]
	v_add_f64 v[70:71], v[10:11], v[64:65]
	v_add_f64 v[10:11], v[34:35], v[238:239]
	v_fmac_f64_e32 v[158:159], v[182:183], v[20:21]
	v_fma_f64 v[182:183], -0.5, v[10:11], v[42:43]
	v_add_f64 v[10:11], v[88:89], -v[250:251]
	v_fmac_f64_e32 v[154:155], v[242:243], v[24:25]
	v_fma_f64 v[242:243], s[16:17], v[10:11], v[182:183]
	v_add_f64 v[66:67], v[90:91], -v[86:87]
	v_add_f64 v[72:73], v[32:33], -v[34:35]
	;; [unrolled: 1-line block ×3, first 2 shown]
	v_fmac_f64_e32 v[182:183], s[6:7], v[10:11]
	v_fmac_f64_e32 v[242:243], s[18:19], v[66:67]
	v_add_f64 v[72:73], v[72:73], v[74:75]
	v_fmac_f64_e32 v[182:183], s[0:1], v[66:67]
	v_fmac_f64_e32 v[242:243], s[14:15], v[72:73]
	;; [unrolled: 1-line block ×3, first 2 shown]
	v_add_f64 v[72:73], v[32:33], v[64:65]
	v_fmac_f64_e32 v[42:43], -0.5, v[72:73]
	v_fma_f64 v[250:251], s[6:7], v[66:67], v[42:43]
	v_fmac_f64_e32 v[42:43], s[16:17], v[66:67]
	v_fmac_f64_e32 v[250:251], s[18:19], v[10:11]
	;; [unrolled: 1-line block ×3, first 2 shown]
	v_add_f64 v[10:11], v[36:37], v[162:163]
	v_add_f64 v[10:11], v[10:11], v[228:229]
	v_add_f64 v[32:33], v[34:35], -v[32:33]
	v_add_f64 v[34:35], v[238:239], -v[64:65]
	v_add_f64 v[10:11], v[10:11], v[230:231]
	v_add_f64 v[32:33], v[32:33], v[34:35]
	;; [unrolled: 1-line block ×4, first 2 shown]
	v_fmac_f64_e32 v[250:251], s[14:15], v[32:33]
	v_fmac_f64_e32 v[42:43], s[14:15], v[32:33]
	v_fma_f64 v[32:33], -0.5, v[10:11], v[36:37]
	v_add_f64 v[10:11], v[152:153], -v[160:161]
	v_fma_f64 v[76:77], s[6:7], v[10:11], v[32:33]
	v_add_f64 v[34:35], v[154:155], -v[158:159]
	v_add_f64 v[64:65], v[162:163], -v[228:229]
	;; [unrolled: 1-line block ×3, first 2 shown]
	v_fmac_f64_e32 v[32:33], s[16:17], v[10:11]
	v_fmac_f64_e32 v[76:77], s[0:1], v[34:35]
	v_add_f64 v[64:65], v[64:65], v[66:67]
	v_fmac_f64_e32 v[32:33], s[18:19], v[34:35]
	v_fmac_f64_e32 v[76:77], s[14:15], v[64:65]
	;; [unrolled: 1-line block ×3, first 2 shown]
	v_add_f64 v[64:65], v[162:163], v[236:237]
	v_fmac_f64_e32 v[36:37], -0.5, v[64:65]
	v_fma_f64 v[80:81], s[16:17], v[34:35], v[36:37]
	v_fmac_f64_e32 v[36:37], s[6:7], v[34:35]
	v_fmac_f64_e32 v[80:81], s[0:1], v[10:11]
	;; [unrolled: 1-line block ×3, first 2 shown]
	v_add_f64 v[10:11], v[38:39], v[152:153]
	v_add_f64 v[10:11], v[10:11], v[154:155]
	;; [unrolled: 1-line block ×3, first 2 shown]
	v_add_f64 v[64:65], v[228:229], -v[162:163]
	v_add_f64 v[66:67], v[230:231], -v[236:237]
	v_add_f64 v[74:75], v[10:11], v[160:161]
	v_add_f64 v[10:11], v[154:155], v[158:159]
	;; [unrolled: 1-line block ×3, first 2 shown]
	v_fma_f64 v[34:35], -0.5, v[10:11], v[38:39]
	v_add_f64 v[10:11], v[162:163], -v[236:237]
	v_fmac_f64_e32 v[80:81], s[14:15], v[64:65]
	v_fmac_f64_e32 v[36:37], s[14:15], v[64:65]
	v_fma_f64 v[78:79], s[16:17], v[10:11], v[34:35]
	v_add_f64 v[64:65], v[228:229], -v[230:231]
	v_add_f64 v[66:67], v[152:153], -v[154:155]
	;; [unrolled: 1-line block ×3, first 2 shown]
	v_fmac_f64_e32 v[34:35], s[6:7], v[10:11]
	v_fmac_f64_e32 v[78:79], s[18:19], v[64:65]
	v_add_f64 v[66:67], v[66:67], v[82:83]
	v_fmac_f64_e32 v[34:35], s[0:1], v[64:65]
	v_fmac_f64_e32 v[78:79], s[14:15], v[66:67]
	;; [unrolled: 1-line block ×3, first 2 shown]
	v_add_f64 v[66:67], v[152:153], v[160:161]
	v_fmac_f64_e32 v[38:39], -0.5, v[66:67]
	v_fma_f64 v[82:83], s[6:7], v[64:65], v[38:39]
	v_add_f64 v[66:67], v[154:155], -v[152:153]
	v_add_f64 v[84:85], v[158:159], -v[160:161]
	v_fmac_f64_e32 v[38:39], s[16:17], v[64:65]
	s_movk_i32 s6, 0x7000
	v_fmac_f64_e32 v[82:83], s[18:19], v[10:11]
	v_add_f64 v[66:67], v[66:67], v[84:85]
	v_fmac_f64_e32 v[38:39], s[0:1], v[10:11]
	v_add_co_u32_e32 v10, vcc, s6, v156
	v_fmac_f64_e32 v[38:39], s[14:15], v[66:67]
	s_nop 0
	v_addc_co_u32_e32 v11, vcc, 0, v157, vcc
	s_mov_b32 s0, 0xb000
	v_fmac_f64_e32 v[82:83], s[14:15], v[66:67]
	ds_write_b128 v94, v[52:55]
	ds_write_b128 v94, v[144:147] offset:6048
	ds_write_b128 v94, v[148:151] offset:12096
	;; [unrolled: 1-line block ×14, first 2 shown]
	s_waitcnt lgkmcnt(0)
	s_barrier
	global_load_dwordx4 v[36:39], v[10:11], off offset:1568
	v_add_co_u32_e32 v10, vcc, s0, v156
	s_mov_b64 s[0:1], 0x7620
	s_nop 0
	v_addc_co_u32_e32 v11, vcc, 0, v157, vcc
	global_load_dwordx4 v[40:43], v[10:11], off offset:304
	v_lshl_add_u64 v[158:159], v[156:157], 0, s[0:1]
	global_load_dwordx4 v[44:47], v[158:159], off offset:2016
	global_load_dwordx4 v[48:51], v[10:11], off offset:2320
	;; [unrolled: 1-line block ×3, first 2 shown]
	s_mov_b32 s0, 0xc000
	v_add_co_u32_e32 v10, vcc, s0, v156
	s_mov_b32 s0, 0x8000
	s_nop 0
	v_addc_co_u32_e32 v11, vcc, 0, v157, vcc
	global_load_dwordx4 v[144:147], v[10:11], off offset:240
	v_add_co_u32_e32 v64, vcc, s0, v156
	s_mov_b32 s0, 0x9000
	s_nop 0
	v_addc_co_u32_e32 v65, vcc, 0, v157, vcc
	global_load_dwordx4 v[148:151], v[64:65], off offset:3520
	global_load_dwordx4 v[152:155], v[10:11], off offset:2256
	v_add_co_u32_e32 v10, vcc, s0, v156
	s_mov_b32 s0, 0xd000
	s_nop 0
	v_addc_co_u32_e32 v11, vcc, 0, v157, vcc
	global_load_dwordx4 v[68:71], v[10:11], off offset:1440
	v_add_co_u32_e32 v64, vcc, s0, v156
	s_mov_b32 s0, 0xa000
	s_nop 0
	v_addc_co_u32_e32 v65, vcc, 0, v157, vcc
	global_load_dwordx4 v[72:75], v[64:65], off offset:176
	global_load_dwordx4 v[76:79], v[10:11], off offset:3456
	v_add_co_u32_e32 v10, vcc, s0, v156
	global_load_dwordx4 v[160:163], v[64:65], off offset:2192
	s_nop 0
	v_addc_co_u32_e32 v11, vcc, 0, v157, vcc
	s_mov_b32 s0, 0xe000
	global_load_dwordx4 v[180:183], v[10:11], off offset:1376
	v_add_co_u32_e32 v10, vcc, s0, v156
	ds_read_b128 v[80:83], v94
	ds_read_b128 v[236:239], v94 offset:2016
	v_addc_co_u32_e32 v11, vcc, 0, v157, vcc
	global_load_dwordx4 v[228:231], v[10:11], off offset:112
	ds_read_b128 v[248:251], v94 offset:15120
	s_waitcnt vmcnt(13) lgkmcnt(2)
	v_mul_f64 v[10:11], v[82:83], v[38:39]
	v_mul_f64 v[242:243], v[80:81], v[38:39]
	v_fma_f64 v[240:241], v[80:81], v[36:37], -v[10:11]
	v_fmac_f64_e32 v[242:243], v[82:83], v[36:37]
	ds_read_b128 v[36:39], v94 offset:12096
	ds_write_b128 v94, v[240:243]
	s_waitcnt vmcnt(12) lgkmcnt(2)
	v_mul_f64 v[10:11], v[250:251], v[42:43]
	v_mul_f64 v[82:83], v[248:249], v[42:43]
	v_fma_f64 v[80:81], v[248:249], v[40:41], -v[10:11]
	v_fmac_f64_e32 v[82:83], v[250:251], v[40:41]
	ds_write_b128 v94, v[80:83] offset:15120
	ds_read_b128 v[80:83], v94 offset:17136
	s_waitcnt vmcnt(11)
	v_mul_f64 v[10:11], v[238:239], v[46:47]
	v_mul_f64 v[42:43], v[236:237], v[46:47]
	v_fma_f64 v[40:41], v[236:237], v[44:45], -v[10:11]
	v_fmac_f64_e32 v[42:43], v[238:239], v[44:45]
	ds_read_b128 v[236:239], v94 offset:4032
	ds_write_b128 v94, v[40:43] offset:2016
	ds_read_b128 v[40:43], v94 offset:19152
	s_waitcnt vmcnt(10) lgkmcnt(3)
	v_mul_f64 v[10:11], v[82:83], v[50:51]
	v_mul_f64 v[46:47], v[80:81], v[50:51]
	v_fma_f64 v[44:45], v[80:81], v[48:49], -v[10:11]
	v_fmac_f64_e32 v[46:47], v[82:83], v[48:49]
	ds_write_b128 v94, v[44:47] offset:17136
	ds_read_b128 v[44:47], v94 offset:6048
	s_waitcnt vmcnt(9) lgkmcnt(4)
	v_mul_f64 v[10:11], v[238:239], v[54:55]
	v_mul_f64 v[50:51], v[236:237], v[54:55]
	v_fma_f64 v[48:49], v[236:237], v[52:53], -v[10:11]
	v_fmac_f64_e32 v[50:51], v[238:239], v[52:53]
	ds_write_b128 v94, v[48:51] offset:4032
	s_waitcnt vmcnt(8) lgkmcnt(3)
	v_mul_f64 v[10:11], v[42:43], v[146:147]
	v_mul_f64 v[50:51], v[40:41], v[146:147]
	v_fma_f64 v[48:49], v[40:41], v[144:145], -v[10:11]
	v_fmac_f64_e32 v[50:51], v[42:43], v[144:145]
	ds_write_b128 v94, v[48:51] offset:19152
	ds_read_b128 v[48:51], v94 offset:21168
	s_waitcnt vmcnt(7) lgkmcnt(3)
	v_mul_f64 v[10:11], v[46:47], v[150:151]
	v_mul_f64 v[42:43], v[44:45], v[150:151]
	ds_read_b128 v[52:55], v94 offset:8064
	v_fma_f64 v[40:41], v[44:45], v[148:149], -v[10:11]
	v_fmac_f64_e32 v[42:43], v[46:47], v[148:149]
	ds_write_b128 v94, v[40:43] offset:6048
	ds_read_b128 v[40:43], v94 offset:23184
	s_waitcnt vmcnt(6) lgkmcnt(3)
	v_mul_f64 v[10:11], v[50:51], v[154:155]
	v_mul_f64 v[46:47], v[48:49], v[154:155]
	v_fma_f64 v[44:45], v[48:49], v[152:153], -v[10:11]
	v_fmac_f64_e32 v[46:47], v[50:51], v[152:153]
	ds_write_b128 v94, v[44:47] offset:21168
	ds_read_b128 v[44:47], v94 offset:10080
	s_waitcnt vmcnt(5) lgkmcnt(4)
	v_mul_f64 v[10:11], v[54:55], v[70:71]
	v_mul_f64 v[50:51], v[52:53], v[70:71]
	v_fma_f64 v[48:49], v[52:53], v[68:69], -v[10:11]
	v_fmac_f64_e32 v[50:51], v[54:55], v[68:69]
	ds_write_b128 v94, v[48:51] offset:8064
	s_waitcnt vmcnt(4) lgkmcnt(3)
	v_mul_f64 v[10:11], v[42:43], v[74:75]
	v_mul_f64 v[50:51], v[40:41], v[74:75]
	v_fma_f64 v[48:49], v[40:41], v[72:73], -v[10:11]
	v_fmac_f64_e32 v[50:51], v[42:43], v[72:73]
	ds_write_b128 v94, v[48:51] offset:23184
	ds_read_b128 v[48:51], v94 offset:25200
	s_waitcnt vmcnt(3) lgkmcnt(3)
	v_mul_f64 v[10:11], v[46:47], v[78:79]
	v_mul_f64 v[42:43], v[44:45], v[78:79]
	v_fma_f64 v[40:41], v[44:45], v[76:77], -v[10:11]
	v_fmac_f64_e32 v[42:43], v[46:47], v[76:77]
	ds_write_b128 v94, v[40:43] offset:10080
	ds_read_b128 v[40:43], v94 offset:27216
	s_waitcnt vmcnt(2) lgkmcnt(2)
	v_mul_f64 v[10:11], v[50:51], v[162:163]
	v_mul_f64 v[46:47], v[48:49], v[162:163]
	v_fma_f64 v[44:45], v[48:49], v[160:161], -v[10:11]
	v_fmac_f64_e32 v[46:47], v[50:51], v[160:161]
	ds_write_b128 v94, v[44:47] offset:25200
	s_waitcnt vmcnt(1)
	v_mul_f64 v[10:11], v[38:39], v[182:183]
	v_mul_f64 v[46:47], v[36:37], v[182:183]
	v_fma_f64 v[44:45], v[36:37], v[180:181], -v[10:11]
	v_fmac_f64_e32 v[46:47], v[38:39], v[180:181]
	s_waitcnt vmcnt(0) lgkmcnt(1)
	v_mul_f64 v[10:11], v[42:43], v[230:231]
	v_mul_f64 v[38:39], v[40:41], v[230:231]
	v_fma_f64 v[36:37], v[40:41], v[228:229], -v[10:11]
	v_fmac_f64_e32 v[38:39], v[42:43], v[228:229]
	ds_write_b128 v94, v[44:47] offset:12096
	ds_write_b128 v94, v[36:39] offset:27216
	s_and_saveexec_b64 s[0:1], s[4:5]
	s_cbranch_execz .LBB0_13
; %bb.12:
	v_add_co_u32_e32 v10, vcc, 0x3000, v158
	ds_read_b128 v[36:39], v94 offset:14112
	s_nop 0
	v_addc_co_u32_e32 v11, vcc, 0, v159, vcc
	global_load_dwordx4 v[40:43], v[10:11], off offset:1824
	s_waitcnt vmcnt(0) lgkmcnt(0)
	v_mul_f64 v[10:11], v[38:39], v[42:43]
	v_fma_f64 v[44:45], v[36:37], v[40:41], -v[10:11]
	v_add_co_u32_e32 v10, vcc, s6, v158
	v_mul_f64 v[46:47], v[36:37], v[42:43]
	s_nop 0
	v_addc_co_u32_e32 v11, vcc, 0, v159, vcc
	v_fmac_f64_e32 v[46:47], v[38:39], v[40:41]
	global_load_dwordx4 v[40:43], v[10:11], off offset:560
	ds_read_b128 v[36:39], v94 offset:29232
	ds_write_b128 v94, v[44:47] offset:14112
	s_waitcnt vmcnt(0) lgkmcnt(1)
	v_mul_f64 v[10:11], v[38:39], v[42:43]
	v_mul_f64 v[46:47], v[36:37], v[42:43]
	v_fma_f64 v[44:45], v[36:37], v[40:41], -v[10:11]
	v_fmac_f64_e32 v[46:47], v[38:39], v[40:41]
	ds_write_b128 v94, v[44:47] offset:29232
.LBB0_13:
	s_or_b64 exec, exec, s[0:1]
	s_waitcnt lgkmcnt(0)
	s_barrier
	ds_read_b128 v[240:243], v94
	ds_read_b128 v[248:251], v94 offset:15120
	ds_read_b128 v[228:231], v94 offset:2016
	ds_read_b128 v[236:239], v94 offset:17136
	ds_read_b128 v[152:155], v94 offset:4032
	ds_read_b128 v[160:163], v94 offset:19152
	ds_read_b128 v[148:151], v94 offset:6048
	ds_read_b128 v[156:159], v94 offset:21168
	ds_read_b128 v[48:51], v94 offset:8064
	ds_read_b128 v[144:147], v94 offset:23184
	ds_read_b128 v[40:43], v94 offset:10080
	ds_read_b128 v[52:55], v94 offset:25200
	ds_read_b128 v[36:39], v94 offset:12096
	ds_read_b128 v[44:47], v94 offset:27216
	v_accvgpr_read_b32 v9, a69
	v_add_u32_e32 v10, 0x4ec0, v9
	v_add_u32_e32 v9, 0x5e80, v9
	s_and_saveexec_b64 s[0:1], s[4:5]
	s_cbranch_execz .LBB0_15
; %bb.14:
	ds_read_b128 v[32:35], v94 offset:14112
	ds_read_b128 v[28:31], v94 offset:29232
.LBB0_15:
	s_or_b64 exec, exec, s[0:1]
	s_waitcnt lgkmcnt(12)
	v_add_f64 v[68:69], v[240:241], -v[248:249]
	v_add_f64 v[70:71], v[242:243], -v[250:251]
	v_fma_f64 v[72:73], v[240:241], 2.0, -v[68:69]
	v_fma_f64 v[74:75], v[242:243], 2.0, -v[70:71]
	s_waitcnt lgkmcnt(10)
	v_add_f64 v[76:77], v[228:229], -v[236:237]
	v_add_f64 v[78:79], v[230:231], -v[238:239]
	v_accvgpr_read_b32 v11, a51
	v_fma_f64 v[80:81], v[228:229], 2.0, -v[76:77]
	v_fma_f64 v[82:83], v[230:231], 2.0, -v[78:79]
	s_waitcnt lgkmcnt(8)
	v_add_f64 v[160:161], v[152:153], -v[160:161]
	v_add_f64 v[162:163], v[154:155], -v[162:163]
	s_waitcnt lgkmcnt(0)
	s_barrier
	ds_write_b128 v11, v[72:75]
	ds_write_b128 v11, v[68:71] offset:16
	v_accvgpr_read_b32 v11, a60
	v_fma_f64 v[152:153], v[152:153], 2.0, -v[160:161]
	v_fma_f64 v[154:155], v[154:155], 2.0, -v[162:163]
	v_add_f64 v[156:157], v[148:149], -v[156:157]
	v_add_f64 v[158:159], v[150:151], -v[158:159]
	ds_write_b128 v11, v[80:83]
	ds_write_b128 v11, v[76:79] offset:16
	v_accvgpr_read_b32 v11, a61
	v_fma_f64 v[148:149], v[148:149], 2.0, -v[156:157]
	v_fma_f64 v[150:151], v[150:151], 2.0, -v[158:159]
	v_add_f64 v[144:145], v[48:49], -v[144:145]
	v_add_f64 v[146:147], v[50:51], -v[146:147]
	;; [unrolled: 7-line block ×3, first 2 shown]
	v_add_f64 v[44:45], v[36:37], -v[44:45]
	v_add_f64 v[46:47], v[38:39], -v[46:47]
	;; [unrolled: 1-line block ×4, first 2 shown]
	ds_write_b128 v11, v[148:151]
	ds_write_b128 v11, v[156:159] offset:16
	v_accvgpr_read_b32 v11, a63
	v_fma_f64 v[40:41], v[40:41], 2.0, -v[52:53]
	v_fma_f64 v[42:43], v[42:43], 2.0, -v[54:55]
	;; [unrolled: 1-line block ×4, first 2 shown]
	ds_write_b128 v11, v[48:51]
	ds_write_b128 v11, v[144:147] offset:16
	ds_write_b128 v10, v[40:43]
	ds_write_b128 v10, v[52:55] offset:16
	;; [unrolled: 2-line block ×3, first 2 shown]
	s_and_saveexec_b64 s[0:1], s[4:5]
	s_cbranch_execz .LBB0_17
; %bb.16:
	v_fma_f64 v[34:35], v[34:35], 2.0, -v[30:31]
	v_fma_f64 v[32:33], v[32:33], 2.0, -v[28:29]
	v_accvgpr_read_b32 v9, a25
	ds_write_b128 v9, v[32:35]
	ds_write_b128 v9, v[28:31] offset:16
.LBB0_17:
	s_or_b64 exec, exec, s[0:1]
	s_waitcnt lgkmcnt(0)
	s_barrier
	ds_read_b128 v[32:35], v94
	ds_read_b128 v[36:39], v94 offset:2016
	ds_read_b128 v[52:55], v94 offset:20160
	;; [unrolled: 1-line block ×14, first 2 shown]
	s_waitcnt lgkmcnt(12)
	v_mul_f64 v[66:67], v[58:59], v[54:55]
	v_fmac_f64_e32 v[66:67], v[56:57], v[52:53]
	v_mul_f64 v[52:53], v[58:59], v[52:53]
	v_fma_f64 v[84:85], v[56:57], v[54:55], -v[52:53]
	s_waitcnt lgkmcnt(10)
	v_mul_f64 v[86:87], v[62:63], v[74:75]
	v_mul_f64 v[52:53], v[62:63], v[72:73]
	v_fmac_f64_e32 v[86:87], v[60:61], v[72:73]
	v_fma_f64 v[72:73], v[60:61], v[74:75], -v[52:53]
	v_mul_f64 v[52:53], v[58:59], v[68:69]
	v_mul_f64 v[74:75], v[58:59], v[70:71]
	v_fma_f64 v[70:71], v[56:57], v[70:71], -v[52:53]
	s_waitcnt lgkmcnt(9)
	v_mul_f64 v[52:53], v[62:63], v[76:77]
	v_mul_f64 v[88:89], v[62:63], v[78:79]
	v_fma_f64 v[78:79], v[60:61], v[78:79], -v[52:53]
	s_waitcnt lgkmcnt(6)
	v_mul_f64 v[90:91], v[58:59], v[82:83]
	v_mul_f64 v[52:53], v[58:59], v[80:81]
	s_waitcnt lgkmcnt(4)
	v_mul_f64 v[10:11], v[62:63], v[150:151]
	v_mul_f64 v[64:65], v[62:63], v[148:149]
	v_fmac_f64_e32 v[90:91], v[56:57], v[80:81]
	v_fma_f64 v[80:81], v[56:57], v[82:83], -v[52:53]
	s_waitcnt lgkmcnt(2)
	v_mul_f64 v[52:53], v[62:63], v[152:153]
	v_fmac_f64_e32 v[10:11], v[60:61], v[148:149]
	v_fma_f64 v[64:65], v[60:61], v[150:151], -v[64:65]
	v_mul_f64 v[148:149], v[62:63], v[154:155]
	v_fma_f64 v[150:151], v[60:61], v[154:155], -v[52:53]
	v_mul_f64 v[52:53], v[58:59], v[144:145]
	v_fmac_f64_e32 v[148:149], v[60:61], v[152:153]
	v_mul_f64 v[152:153], v[58:59], v[146:147]
	v_fma_f64 v[146:147], v[56:57], v[146:147], -v[52:53]
	s_waitcnt lgkmcnt(1)
	v_mul_f64 v[154:155], v[62:63], v[158:159]
	v_mul_f64 v[52:53], v[62:63], v[156:157]
	v_fmac_f64_e32 v[154:155], v[60:61], v[156:157]
	v_fma_f64 v[156:157], v[60:61], v[158:159], -v[52:53]
	s_waitcnt lgkmcnt(0)
	v_mul_f64 v[158:159], v[58:59], v[162:163]
	v_mul_f64 v[52:53], v[58:59], v[160:161]
	v_add_f64 v[54:55], v[10:11], v[66:67]
	s_mov_b32 s0, 0xe8584caa
	v_fmac_f64_e32 v[158:159], v[56:57], v[160:161]
	v_fma_f64 v[160:161], v[56:57], v[162:163], -v[52:53]
	v_add_f64 v[52:53], v[32:33], v[10:11]
	v_fmac_f64_e32 v[32:33], -0.5, v[54:55]
	v_add_f64 v[54:55], v[64:65], -v[84:85]
	s_mov_b32 s1, 0xbfebb67a
	s_mov_b32 s7, 0x3febb67a
	;; [unrolled: 1-line block ×3, first 2 shown]
	v_add_f64 v[58:59], v[64:65], v[84:85]
	v_fmac_f64_e32 v[74:75], v[56:57], v[68:69]
	v_fmac_f64_e32 v[152:153], v[56:57], v[144:145]
	v_fma_f64 v[56:57], s[0:1], v[54:55], v[32:33]
	v_fmac_f64_e32 v[32:33], s[6:7], v[54:55]
	v_add_f64 v[54:55], v[34:35], v[64:65]
	v_fmac_f64_e32 v[34:35], -0.5, v[58:59]
	v_add_f64 v[10:11], v[10:11], -v[66:67]
	v_fma_f64 v[58:59], s[6:7], v[10:11], v[34:35]
	v_fmac_f64_e32 v[34:35], s[0:1], v[10:11]
	v_add_f64 v[10:11], v[36:37], v[86:87]
	v_fmac_f64_e32 v[88:89], v[60:61], v[76:77]
	v_add_f64 v[60:61], v[10:11], v[74:75]
	v_add_f64 v[10:11], v[86:87], v[74:75]
	v_fmac_f64_e32 v[36:37], -0.5, v[10:11]
	v_add_f64 v[10:11], v[72:73], -v[70:71]
	v_fma_f64 v[68:69], s[0:1], v[10:11], v[36:37]
	v_fmac_f64_e32 v[36:37], s[6:7], v[10:11]
	v_add_f64 v[10:11], v[38:39], v[72:73]
	v_add_f64 v[62:63], v[10:11], v[70:71]
	v_add_f64 v[10:11], v[72:73], v[70:71]
	v_fmac_f64_e32 v[38:39], -0.5, v[10:11]
	v_add_f64 v[10:11], v[86:87], -v[74:75]
	v_fma_f64 v[70:71], s[6:7], v[10:11], v[38:39]
	v_fmac_f64_e32 v[38:39], s[0:1], v[10:11]
	v_add_f64 v[10:11], v[40:41], v[88:89]
	;; [unrolled: 7-line block ×6, first 2 shown]
	v_add_f64 v[148:149], v[10:11], v[158:159]
	v_add_f64 v[10:11], v[154:155], v[158:159]
	;; [unrolled: 1-line block ×4, first 2 shown]
	v_fmac_f64_e32 v[48:49], -0.5, v[10:11]
	v_add_f64 v[10:11], v[156:157], -v[160:161]
	v_accvgpr_read_b32 v9, a64
	v_fma_f64 v[152:153], s[0:1], v[10:11], v[48:49]
	v_fmac_f64_e32 v[48:49], s[6:7], v[10:11]
	v_add_f64 v[10:11], v[50:51], v[156:157]
	s_barrier
	ds_write_b128 v9, v[52:55]
	ds_write_b128 v9, v[56:59] offset:32
	ds_write_b128 v9, v[32:35] offset:64
	v_accvgpr_read_b32 v9, a65
	v_add_f64 v[150:151], v[10:11], v[160:161]
	v_add_f64 v[10:11], v[156:157], v[160:161]
	ds_write_b128 v9, v[60:63]
	ds_write_b128 v9, v[68:71] offset:32
	ds_write_b128 v9, v[36:39] offset:64
	v_accvgpr_read_b32 v9, a66
	v_fmac_f64_e32 v[50:51], -0.5, v[10:11]
	v_add_f64 v[10:11], v[154:155], -v[158:159]
	ds_write_b128 v9, v[72:75]
	ds_write_b128 v9, v[76:79] offset:32
	ds_write_b128 v9, v[40:43] offset:64
	v_accvgpr_read_b32 v9, a67
	v_fma_f64 v[154:155], s[6:7], v[10:11], v[50:51]
	v_fmac_f64_e32 v[50:51], s[0:1], v[10:11]
	ds_write_b128 v9, v[80:83]
	ds_write_b128 v9, v[144:147] offset:32
	ds_write_b128 v9, v[44:47] offset:64
	v_accvgpr_read_b32 v9, a68
	v_accvgpr_read_b32 v87, a77
	ds_write_b128 v9, v[148:151]
	ds_write_b128 v9, v[152:155] offset:32
	ds_write_b128 v9, v[48:51] offset:64
	s_waitcnt lgkmcnt(0)
	s_barrier
	ds_read_b128 v[32:35], v94
	ds_read_b128 v[36:39], v94 offset:2016
	ds_read_b128 v[52:55], v94 offset:20160
	ds_read_b128 v[56:59], v94 offset:22176
	ds_read_b128 v[60:63], v94 offset:12096
	ds_read_b128 v[68:71], v94 offset:14112
	ds_read_b128 v[40:43], v94 offset:4032
	ds_read_b128 v[44:47], v94 offset:6048
	ds_read_b128 v[72:75], v94 offset:24192
	ds_read_b128 v[76:79], v94 offset:26208
	ds_read_b128 v[80:83], v94 offset:10080
	ds_read_b128 v[48:51], v94 offset:8064
	ds_read_b128 v[144:147], v94 offset:16128
	ds_read_b128 v[148:151], v94 offset:18144
	ds_read_b128 v[152:155], v94 offset:28224
	v_accvgpr_read_b32 v86, a76
	v_accvgpr_read_b32 v85, a75
	;; [unrolled: 1-line block ×3, first 2 shown]
	s_waitcnt lgkmcnt(4)
	v_mul_f64 v[10:11], v[86:87], v[82:83]
	v_mul_f64 v[64:65], v[86:87], v[80:81]
	v_fmac_f64_e32 v[10:11], v[84:85], v[80:81]
	v_fma_f64 v[64:65], v[84:85], v[82:83], -v[64:65]
	v_accvgpr_read_b32 v83, a73
	v_accvgpr_read_b32 v82, a72
	;; [unrolled: 1-line block ×4, first 2 shown]
	v_mul_f64 v[66:67], v[82:83], v[54:55]
	v_accvgpr_read_b32 v87, a85
	v_fmac_f64_e32 v[66:67], v[80:81], v[52:53]
	v_mul_f64 v[52:53], v[82:83], v[52:53]
	v_accvgpr_read_b32 v86, a84
	v_fma_f64 v[80:81], v[80:81], v[54:55], -v[52:53]
	v_accvgpr_read_b32 v85, a83
	v_accvgpr_read_b32 v84, a82
	v_mul_f64 v[82:83], v[86:87], v[62:63]
	v_mul_f64 v[52:53], v[86:87], v[60:61]
	v_fmac_f64_e32 v[82:83], v[84:85], v[60:61]
	v_fma_f64 v[84:85], v[84:85], v[62:63], -v[52:53]
	v_accvgpr_read_b32 v60, a78
	v_accvgpr_read_b32 v62, a80
	;; [unrolled: 1-line block ×4, first 2 shown]
	v_mul_f64 v[86:87], v[62:63], v[58:59]
	v_fmac_f64_e32 v[86:87], v[60:61], v[56:57]
	v_mul_f64 v[52:53], v[62:63], v[56:57]
	v_accvgpr_read_b32 v54, a90
	v_accvgpr_read_b32 v56, a92
	;; [unrolled: 1-line block ×3, first 2 shown]
	v_fma_f64 v[88:89], v[60:61], v[58:59], -v[52:53]
	v_accvgpr_read_b32 v55, a91
	v_mul_f64 v[90:91], v[56:57], v[70:71]
	v_mul_f64 v[52:53], v[56:57], v[68:69]
	v_fmac_f64_e32 v[90:91], v[54:55], v[68:69]
	v_fma_f64 v[156:157], v[54:55], v[70:71], -v[52:53]
	v_accvgpr_read_b32 v54, a86
	v_accvgpr_read_b32 v56, a88
	;; [unrolled: 1-line block ×4, first 2 shown]
	v_mul_f64 v[158:159], v[56:57], v[74:75]
	v_mul_f64 v[52:53], v[56:57], v[72:73]
	v_fmac_f64_e32 v[158:159], v[54:55], v[72:73]
	v_fma_f64 v[74:75], v[54:55], v[74:75], -v[52:53]
	v_accvgpr_read_b32 v54, a98
	v_accvgpr_read_b32 v56, a100
	;; [unrolled: 1-line block ×4, first 2 shown]
	s_waitcnt lgkmcnt(2)
	v_mul_f64 v[160:161], v[56:57], v[146:147]
	v_mul_f64 v[52:53], v[56:57], v[144:145]
	v_fmac_f64_e32 v[160:161], v[54:55], v[144:145]
	v_fma_f64 v[144:145], v[54:55], v[146:147], -v[52:53]
	v_accvgpr_read_b32 v54, a94
	v_accvgpr_read_b32 v56, a96
	;; [unrolled: 1-line block ×4, first 2 shown]
	v_mul_f64 v[52:53], v[56:57], v[76:77]
	v_mul_f64 v[146:147], v[56:57], v[78:79]
	v_fma_f64 v[162:163], v[54:55], v[78:79], -v[52:53]
	s_waitcnt lgkmcnt(1)
	v_mul_f64 v[180:181], v[102:103], v[150:151]
	v_mul_f64 v[52:53], v[102:103], v[148:149]
	v_fmac_f64_e32 v[146:147], v[54:55], v[76:77]
	v_fmac_f64_e32 v[180:181], v[100:101], v[148:149]
	v_fma_f64 v[100:101], v[100:101], v[150:151], -v[52:53]
	s_waitcnt lgkmcnt(0)
	v_mul_f64 v[102:103], v[98:99], v[154:155]
	v_mul_f64 v[52:53], v[98:99], v[152:153]
	v_add_f64 v[54:55], v[10:11], v[66:67]
	v_fmac_f64_e32 v[102:103], v[96:97], v[152:153]
	v_fma_f64 v[96:97], v[96:97], v[154:155], -v[52:53]
	v_add_f64 v[52:53], v[32:33], v[10:11]
	v_fmac_f64_e32 v[32:33], -0.5, v[54:55]
	v_add_f64 v[54:55], v[64:65], -v[80:81]
	v_add_f64 v[58:59], v[64:65], v[80:81]
	v_fma_f64 v[56:57], s[0:1], v[54:55], v[32:33]
	v_fmac_f64_e32 v[32:33], s[6:7], v[54:55]
	v_add_f64 v[54:55], v[34:35], v[64:65]
	v_fmac_f64_e32 v[34:35], -0.5, v[58:59]
	v_add_f64 v[10:11], v[10:11], -v[66:67]
	v_fma_f64 v[58:59], s[6:7], v[10:11], v[34:35]
	v_fmac_f64_e32 v[34:35], s[0:1], v[10:11]
	v_add_f64 v[10:11], v[36:37], v[82:83]
	v_add_f64 v[60:61], v[10:11], v[86:87]
	;; [unrolled: 1-line block ×3, first 2 shown]
	v_fmac_f64_e32 v[36:37], -0.5, v[10:11]
	v_add_f64 v[10:11], v[84:85], -v[88:89]
	v_fma_f64 v[64:65], s[0:1], v[10:11], v[36:37]
	v_fmac_f64_e32 v[36:37], s[6:7], v[10:11]
	v_add_f64 v[10:11], v[38:39], v[84:85]
	v_add_f64 v[62:63], v[10:11], v[88:89]
	;; [unrolled: 1-line block ×3, first 2 shown]
	v_fmac_f64_e32 v[38:39], -0.5, v[10:11]
	v_add_f64 v[10:11], v[82:83], -v[86:87]
	v_add_f64 v[52:53], v[52:53], v[66:67]
	v_fma_f64 v[66:67], s[6:7], v[10:11], v[38:39]
	v_fmac_f64_e32 v[38:39], s[0:1], v[10:11]
	v_add_f64 v[10:11], v[40:41], v[90:91]
	v_add_f64 v[68:69], v[10:11], v[158:159]
	v_add_f64 v[10:11], v[90:91], v[158:159]
	v_fmac_f64_e32 v[40:41], -0.5, v[10:11]
	v_add_f64 v[10:11], v[156:157], -v[74:75]
	v_fma_f64 v[72:73], s[0:1], v[10:11], v[40:41]
	v_fmac_f64_e32 v[40:41], s[6:7], v[10:11]
	v_add_f64 v[10:11], v[42:43], v[156:157]
	v_add_f64 v[70:71], v[10:11], v[74:75]
	v_add_f64 v[10:11], v[156:157], v[74:75]
	v_fmac_f64_e32 v[42:43], -0.5, v[10:11]
	v_add_f64 v[10:11], v[90:91], -v[158:159]
	;; [unrolled: 7-line block ×3, first 2 shown]
	v_add_f64 v[54:55], v[54:55], v[80:81]
	v_fma_f64 v[80:81], s[0:1], v[10:11], v[44:45]
	v_fmac_f64_e32 v[44:45], s[6:7], v[10:11]
	v_add_f64 v[10:11], v[46:47], v[144:145]
	v_add_f64 v[78:79], v[10:11], v[162:163]
	;; [unrolled: 1-line block ×3, first 2 shown]
	v_fmac_f64_e32 v[46:47], -0.5, v[10:11]
	v_add_f64 v[10:11], v[160:161], -v[146:147]
	v_fma_f64 v[82:83], s[6:7], v[10:11], v[46:47]
	v_fmac_f64_e32 v[46:47], s[0:1], v[10:11]
	v_add_f64 v[10:11], v[48:49], v[180:181]
	v_add_f64 v[84:85], v[10:11], v[102:103]
	v_add_f64 v[10:11], v[180:181], v[102:103]
	v_fmac_f64_e32 v[48:49], -0.5, v[10:11]
	v_add_f64 v[10:11], v[100:101], -v[96:97]
	v_accvgpr_read_b32 v9, a102
	v_fma_f64 v[88:89], s[0:1], v[10:11], v[48:49]
	v_fmac_f64_e32 v[48:49], s[6:7], v[10:11]
	v_add_f64 v[10:11], v[50:51], v[100:101]
	s_barrier
	ds_write_b128 v9, v[52:55]
	ds_write_b128 v9, v[56:59] offset:96
	ds_write_b128 v9, v[32:35] offset:192
	v_accvgpr_read_b32 v9, a103
	v_add_f64 v[86:87], v[10:11], v[96:97]
	v_add_f64 v[10:11], v[100:101], v[96:97]
	ds_write_b128 v9, v[60:63]
	ds_write_b128 v9, v[64:67] offset:96
	ds_write_b128 v9, v[36:39] offset:192
	v_accvgpr_read_b32 v9, a104
	v_fmac_f64_e32 v[50:51], -0.5, v[10:11]
	v_add_f64 v[10:11], v[180:181], -v[102:103]
	ds_write_b128 v9, v[68:71]
	ds_write_b128 v9, v[72:75] offset:96
	ds_write_b128 v9, v[40:43] offset:192
	v_accvgpr_read_b32 v9, a105
	v_fma_f64 v[90:91], s[6:7], v[10:11], v[50:51]
	v_fmac_f64_e32 v[50:51], s[0:1], v[10:11]
	ds_write_b128 v9, v[76:79]
	ds_write_b128 v9, v[80:83] offset:96
	ds_write_b128 v9, v[44:47] offset:192
	v_accvgpr_read_b32 v9, a106
	ds_write_b128 v9, v[84:87]
	ds_write_b128 v9, v[88:91] offset:96
	ds_write_b128 v9, v[48:51] offset:192
	s_waitcnt lgkmcnt(0)
	s_barrier
	ds_read_b128 v[36:39], v94
	ds_read_b128 v[40:43], v94 offset:2016
	ds_read_b128 v[52:55], v94 offset:20160
	ds_read_b128 v[56:59], v94 offset:22176
	ds_read_b128 v[60:63], v94 offset:12096
	ds_read_b128 v[64:67], v94 offset:14112
	ds_read_b128 v[44:47], v94 offset:4032
	ds_read_b128 v[48:51], v94 offset:6048
	ds_read_b128 v[68:71], v94 offset:24192
	ds_read_b128 v[72:75], v94 offset:26208
	ds_read_b128 v[76:79], v94 offset:10080
	ds_read_b128 v[32:35], v94 offset:8064
	ds_read_b128 v[80:83], v94 offset:16128
	ds_read_b128 v[84:87], v94 offset:18144
	ds_read_b128 v[88:91], v94 offset:28224
	s_waitcnt lgkmcnt(4)
	v_mul_f64 v[10:11], v[110:111], v[78:79]
	v_fmac_f64_e32 v[10:11], v[108:109], v[76:77]
	v_mul_f64 v[76:77], v[110:111], v[76:77]
	v_fma_f64 v[76:77], v[108:109], v[78:79], -v[76:77]
	v_mul_f64 v[78:79], v[106:107], v[54:55]
	v_fmac_f64_e32 v[78:79], v[104:105], v[52:53]
	v_mul_f64 v[52:53], v[106:107], v[52:53]
	v_fma_f64 v[96:97], v[104:105], v[54:55], -v[52:53]
	v_mul_f64 v[52:53], v[118:119], v[60:61]
	v_fma_f64 v[100:101], v[116:117], v[62:63], -v[52:53]
	;; [unrolled: 2-line block ×3, first 2 shown]
	v_mul_f64 v[52:53], v[126:127], v[64:65]
	v_mul_f64 v[102:103], v[114:115], v[58:59]
	v_fma_f64 v[108:109], v[124:125], v[66:67], -v[52:53]
	v_mul_f64 v[52:53], v[122:123], v[68:69]
	v_fmac_f64_e32 v[102:103], v[112:113], v[56:57]
	v_fma_f64 v[112:113], v[120:121], v[70:71], -v[52:53]
	s_waitcnt lgkmcnt(2)
	v_mul_f64 v[52:53], v[134:135], v[80:81]
	v_mul_f64 v[114:115], v[134:135], v[82:83]
	v_fma_f64 v[82:83], v[132:133], v[82:83], -v[52:53]
	v_mul_f64 v[52:53], v[130:131], v[72:73]
	v_mul_f64 v[98:99], v[118:119], v[62:63]
	v_fma_f64 v[118:119], v[128:129], v[74:75], -v[52:53]
	s_waitcnt lgkmcnt(1)
	v_mul_f64 v[52:53], v[142:143], v[84:85]
	v_mul_f64 v[106:107], v[126:127], v[66:67]
	;; [unrolled: 1-line block ×3, first 2 shown]
	v_fma_f64 v[122:123], v[140:141], v[86:87], -v[52:53]
	s_waitcnt lgkmcnt(0)
	v_mul_f64 v[52:53], v[138:139], v[88:89]
	v_add_f64 v[54:55], v[10:11], v[78:79]
	v_fmac_f64_e32 v[106:107], v[124:125], v[64:65]
	v_mul_f64 v[124:125], v[138:139], v[90:91]
	v_fma_f64 v[90:91], v[136:137], v[90:91], -v[52:53]
	v_add_f64 v[52:53], v[36:37], v[10:11]
	v_fmac_f64_e32 v[36:37], -0.5, v[54:55]
	v_add_f64 v[54:55], v[76:77], -v[96:97]
	v_add_f64 v[58:59], v[76:77], v[96:97]
	v_fmac_f64_e32 v[98:99], v[116:117], v[60:61]
	v_fma_f64 v[56:57], s[0:1], v[54:55], v[36:37]
	v_fmac_f64_e32 v[36:37], s[6:7], v[54:55]
	v_add_f64 v[54:55], v[38:39], v[76:77]
	v_fmac_f64_e32 v[38:39], -0.5, v[58:59]
	v_add_f64 v[10:11], v[10:11], -v[78:79]
	v_fma_f64 v[58:59], s[6:7], v[10:11], v[38:39]
	v_fmac_f64_e32 v[38:39], s[0:1], v[10:11]
	v_add_f64 v[10:11], v[40:41], v[98:99]
	v_add_f64 v[60:61], v[10:11], v[102:103]
	;; [unrolled: 1-line block ×3, first 2 shown]
	v_fmac_f64_e32 v[40:41], -0.5, v[10:11]
	v_add_f64 v[10:11], v[100:101], -v[104:105]
	v_fma_f64 v[64:65], s[0:1], v[10:11], v[40:41]
	v_fmac_f64_e32 v[40:41], s[6:7], v[10:11]
	v_add_f64 v[10:11], v[42:43], v[100:101]
	v_add_f64 v[62:63], v[10:11], v[104:105]
	;; [unrolled: 1-line block ×3, first 2 shown]
	v_fmac_f64_e32 v[42:43], -0.5, v[10:11]
	v_add_f64 v[10:11], v[98:99], -v[102:103]
	v_fmac_f64_e32 v[110:111], v[120:121], v[68:69]
	v_fma_f64 v[66:67], s[6:7], v[10:11], v[42:43]
	v_fmac_f64_e32 v[42:43], s[0:1], v[10:11]
	v_add_f64 v[10:11], v[44:45], v[106:107]
	v_add_f64 v[68:69], v[10:11], v[110:111]
	;; [unrolled: 1-line block ×3, first 2 shown]
	v_mul_f64 v[116:117], v[130:131], v[74:75]
	v_fmac_f64_e32 v[44:45], -0.5, v[10:11]
	v_add_f64 v[10:11], v[108:109], -v[112:113]
	v_fmac_f64_e32 v[116:117], v[128:129], v[72:73]
	v_fma_f64 v[72:73], s[0:1], v[10:11], v[44:45]
	v_fmac_f64_e32 v[44:45], s[6:7], v[10:11]
	v_add_f64 v[10:11], v[46:47], v[108:109]
	v_add_f64 v[70:71], v[10:11], v[112:113]
	;; [unrolled: 1-line block ×3, first 2 shown]
	v_fmac_f64_e32 v[114:115], v[132:133], v[80:81]
	v_fmac_f64_e32 v[46:47], -0.5, v[10:11]
	v_add_f64 v[10:11], v[106:107], -v[110:111]
	v_fma_f64 v[74:75], s[6:7], v[10:11], v[46:47]
	v_fmac_f64_e32 v[46:47], s[0:1], v[10:11]
	v_add_f64 v[10:11], v[48:49], v[114:115]
	v_add_f64 v[76:77], v[10:11], v[116:117]
	;; [unrolled: 1-line block ×3, first 2 shown]
	v_fmac_f64_e32 v[48:49], -0.5, v[10:11]
	v_add_f64 v[10:11], v[82:83], -v[118:119]
	v_fma_f64 v[80:81], s[0:1], v[10:11], v[48:49]
	v_fmac_f64_e32 v[48:49], s[6:7], v[10:11]
	v_add_f64 v[10:11], v[50:51], v[82:83]
	v_mul_f64 v[120:121], v[142:143], v[86:87]
	v_add_f64 v[52:53], v[52:53], v[78:79]
	v_add_f64 v[78:79], v[10:11], v[118:119]
	;; [unrolled: 1-line block ×3, first 2 shown]
	v_fmac_f64_e32 v[120:121], v[140:141], v[84:85]
	v_fmac_f64_e32 v[50:51], -0.5, v[10:11]
	v_add_f64 v[10:11], v[114:115], -v[116:117]
	v_fmac_f64_e32 v[124:125], v[136:137], v[88:89]
	v_fma_f64 v[82:83], s[6:7], v[10:11], v[50:51]
	v_fmac_f64_e32 v[50:51], s[0:1], v[10:11]
	v_add_f64 v[10:11], v[32:33], v[120:121]
	v_add_f64 v[84:85], v[10:11], v[124:125]
	;; [unrolled: 1-line block ×4, first 2 shown]
	v_fmac_f64_e32 v[32:33], -0.5, v[10:11]
	v_add_f64 v[10:11], v[122:123], -v[90:91]
	v_accvgpr_read_b32 v9, a107
	v_fma_f64 v[88:89], s[0:1], v[10:11], v[32:33]
	v_fmac_f64_e32 v[32:33], s[6:7], v[10:11]
	v_add_f64 v[10:11], v[34:35], v[122:123]
	s_barrier
	ds_write_b128 v9, v[52:55]
	ds_write_b128 v9, v[56:59] offset:288
	ds_write_b128 v9, v[36:39] offset:576
	v_accvgpr_read_b32 v9, a128
	v_add_f64 v[86:87], v[10:11], v[90:91]
	v_add_f64 v[10:11], v[122:123], v[90:91]
	ds_write_b128 v9, v[60:63]
	ds_write_b128 v9, v[64:67] offset:288
	ds_write_b128 v9, v[40:43] offset:576
	v_accvgpr_read_b32 v9, a129
	v_fmac_f64_e32 v[34:35], -0.5, v[10:11]
	v_add_f64 v[10:11], v[120:121], -v[124:125]
	ds_write_b128 v9, v[68:71]
	ds_write_b128 v9, v[72:75] offset:288
	ds_write_b128 v9, v[44:47] offset:576
	v_accvgpr_read_b32 v9, a130
	v_fma_f64 v[90:91], s[6:7], v[10:11], v[34:35]
	ds_write_b128 v9, v[76:79]
	ds_write_b128 v9, v[80:83] offset:288
	ds_write_b128 v9, v[48:51] offset:576
	v_accvgpr_read_b32 v9, a131
	v_fmac_f64_e32 v[34:35], s[0:1], v[10:11]
	ds_write_b128 v9, v[84:87]
	ds_write_b128 v9, v[88:91] offset:288
	ds_write_b128 v9, v[32:35] offset:576
	s_waitcnt lgkmcnt(0)
	s_barrier
	ds_read_b128 v[36:39], v94
	ds_read_b128 v[56:59], v94 offset:2016
	ds_read_b128 v[88:91], v94 offset:4320
	;; [unrolled: 1-line block ×13, first 2 shown]
	s_and_saveexec_b64 s[0:1], s[2:3]
	s_cbranch_execz .LBB0_19
; %bb.18:
	ds_read_b128 v[32:35], v94 offset:4032
	ds_read_b128 v[28:31], v94 offset:8352
	;; [unrolled: 1-line block ×7, first 2 shown]
.LBB0_19:
	s_or_b64 exec, exec, s[0:1]
	s_waitcnt lgkmcnt(11)
	v_mul_f64 v[10:11], v[178:179], v[90:91]
	v_fmac_f64_e32 v[10:11], v[176:177], v[88:89]
	v_mul_f64 v[88:89], v[178:179], v[88:89]
	v_fma_f64 v[88:89], v[176:177], v[90:91], -v[88:89]
	s_waitcnt lgkmcnt(9)
	v_mul_f64 v[90:91], v[174:175], v[86:87]
	v_fmac_f64_e32 v[90:91], v[172:173], v[84:85]
	v_mul_f64 v[84:85], v[174:175], v[84:85]
	v_fma_f64 v[84:85], v[172:173], v[86:87], -v[84:85]
	;; [unrolled: 5-line block ×5, first 2 shown]
	s_waitcnt lgkmcnt(1)
	v_mul_f64 v[74:75], v[186:187], v[70:71]
	v_fmac_f64_e32 v[74:75], v[184:185], v[68:69]
	v_mul_f64 v[68:69], v[186:187], v[68:69]
	v_mul_f64 v[110:111], v[214:215], v[46:47]
	s_waitcnt lgkmcnt(0)
	v_mul_f64 v[114:115], v[206:207], v[42:43]
	v_fma_f64 v[68:69], v[184:185], v[70:71], -v[68:69]
	v_mul_f64 v[70:71], v[210:211], v[66:67]
	v_mul_f64 v[102:103], v[198:199], v[54:55]
	;; [unrolled: 1-line block ×3, first 2 shown]
	v_fmac_f64_e32 v[110:111], v[212:213], v[44:45]
	v_mul_f64 v[44:45], v[214:215], v[44:45]
	v_fmac_f64_e32 v[114:115], v[204:205], v[40:41]
	v_mul_f64 v[40:41], v[206:207], v[40:41]
	;; [unrolled: 2-line block ×3, first 2 shown]
	v_mul_f64 v[98:99], v[202:203], v[62:63]
	v_fmac_f64_e32 v[102:103], v[196:197], v[52:53]
	v_mul_f64 v[52:53], v[198:199], v[52:53]
	v_fmac_f64_e32 v[106:107], v[192:193], v[48:49]
	v_mul_f64 v[48:49], v[194:195], v[48:49]
	v_fma_f64 v[112:113], v[212:213], v[46:47], -v[44:45]
	v_fma_f64 v[116:117], v[204:205], v[42:43], -v[40:41]
	v_add_f64 v[40:41], v[10:11], v[74:75]
	v_add_f64 v[46:47], v[90:91], v[78:79]
	v_fma_f64 v[96:97], v[208:209], v[66:67], -v[64:65]
	v_fmac_f64_e32 v[98:99], v[200:201], v[60:61]
	v_mul_f64 v[60:61], v[202:203], v[60:61]
	v_fma_f64 v[104:105], v[196:197], v[54:55], -v[52:53]
	v_fma_f64 v[108:109], v[192:193], v[50:51], -v[48:49]
	v_add_f64 v[42:43], v[88:89], v[68:69]
	v_add_f64 v[48:49], v[84:85], v[72:73]
	v_add_f64 v[54:55], v[86:87], v[82:83]
	v_add_f64 v[66:67], v[46:47], v[40:41]
	v_fma_f64 v[100:101], v[200:201], v[62:63], -v[60:61]
	v_add_f64 v[44:45], v[88:89], -v[68:69]
	v_add_f64 v[52:53], v[84:85], -v[72:73]
	v_add_f64 v[60:61], v[80:81], v[76:77]
	v_add_f64 v[68:69], v[48:49], v[42:43]
	v_add_f64 v[72:73], v[46:47], -v[40:41]
	v_add_f64 v[40:41], v[40:41], -v[54:55]
	;; [unrolled: 1-line block ×3, first 2 shown]
	v_add_f64 v[54:55], v[54:55], v[66:67]
	v_add_f64 v[10:11], v[10:11], -v[74:75]
	v_add_f64 v[64:65], v[76:77], -v[80:81]
	;; [unrolled: 1-line block ×5, first 2 shown]
	v_add_f64 v[60:61], v[60:61], v[68:69]
	v_add_f64 v[36:37], v[36:37], v[54:55]
	s_mov_b32 s14, 0x37e14327
	s_mov_b32 s16, 0x36b3c0b5
	s_mov_b32 s18, 0xe976ee23
	s_mov_b32 s0, 0x429ad128
	s_mov_b32 s26, 0xaaaaaaaa
	v_add_f64 v[50:51], v[90:91], -v[78:79]
	v_add_f64 v[62:63], v[82:83], -v[86:87]
	v_add_f64 v[78:79], v[64:65], v[52:53]
	v_add_f64 v[82:83], v[64:65], -v[52:53]
	v_add_f64 v[52:53], v[52:53], -v[44:45]
	v_add_f64 v[38:39], v[38:39], v[60:61]
	s_mov_b32 s15, 0x3fe948f6
	s_mov_b32 s17, 0x3fac98ee
	;; [unrolled: 1-line block ×5, first 2 shown]
	v_mov_b64_e32 v[84:85], v[36:37]
	s_mov_b32 s6, 0x5476071b
	s_mov_b32 s28, 0xb247c609
	v_add_f64 v[76:77], v[62:63], v[50:51]
	v_add_f64 v[80:81], v[62:63], -v[50:51]
	v_add_f64 v[64:65], v[44:45], -v[64:65]
	;; [unrolled: 1-line block ×3, first 2 shown]
	v_add_f64 v[44:45], v[78:79], v[44:45]
	v_mul_f64 v[40:41], v[40:41], s[14:15]
	v_mul_f64 v[66:67], v[46:47], s[16:17]
	;; [unrolled: 1-line block ×5, first 2 shown]
	v_fmac_f64_e32 v[84:85], s[26:27], v[54:55]
	v_mov_b64_e32 v[54:55], v[38:39]
	s_mov_b32 s7, 0x3fe77f67
	s_mov_b32 s21, 0xbfe77f67
	s_mov_b32 s20, s6
	s_mov_b32 s29, 0xbfd5d0dc
	s_mov_b32 s25, 0x3fd5d0dc
	s_mov_b32 s24, s28
	s_mov_b32 s22, 0x37c3f68c
	v_add_f64 v[62:63], v[10:11], -v[62:63]
	v_add_f64 v[10:11], v[76:77], v[10:11]
	v_mul_f64 v[42:43], v[42:43], s[14:15]
	v_mul_f64 v[76:77], v[80:81], s[18:19]
	v_mul_f64 v[80:81], v[50:51], s[0:1]
	v_fmac_f64_e32 v[54:55], s[26:27], v[60:61]
	v_fma_f64 v[60:61], v[72:73], s[6:7], -v[66:67]
	v_fma_f64 v[66:67], v[74:75], s[6:7], -v[68:69]
	;; [unrolled: 1-line block ×3, first 2 shown]
	v_fmac_f64_e32 v[40:41], s[16:17], v[46:47]
	v_fma_f64 v[52:53], v[52:53], s[0:1], -v[78:79]
	v_fmac_f64_e32 v[78:79], s[28:29], v[64:65]
	v_fma_f64 v[64:65], v[64:65], s[24:25], -v[82:83]
	s_mov_b32 s23, 0xbfdc38aa
	v_fma_f64 v[46:47], v[74:75], s[20:21], -v[42:43]
	v_fmac_f64_e32 v[42:43], s[16:17], v[48:49]
	v_fma_f64 v[72:73], v[50:51], s[0:1], -v[76:77]
	v_fmac_f64_e32 v[76:77], s[28:29], v[62:63]
	v_fma_f64 v[62:63], v[62:63], s[24:25], -v[80:81]
	v_add_f64 v[74:75], v[40:41], v[84:85]
	v_add_f64 v[60:61], v[60:61], v[84:85]
	;; [unrolled: 1-line block ×3, first 2 shown]
	v_fmac_f64_e32 v[78:79], s[22:23], v[44:45]
	v_fmac_f64_e32 v[52:53], s[22:23], v[44:45]
	;; [unrolled: 1-line block ×3, first 2 shown]
	v_add_f64 v[80:81], v[42:43], v[54:55]
	v_add_f64 v[66:67], v[66:67], v[54:55]
	;; [unrolled: 1-line block ×3, first 2 shown]
	v_fmac_f64_e32 v[76:77], s[22:23], v[10:11]
	v_fmac_f64_e32 v[72:73], s[22:23], v[10:11]
	;; [unrolled: 1-line block ×3, first 2 shown]
	v_add_f64 v[40:41], v[78:79], v[74:75]
	v_add_f64 v[44:45], v[64:65], v[68:69]
	v_add_f64 v[48:49], v[60:61], -v[52:53]
	v_add_f64 v[52:53], v[52:53], v[60:61]
	v_add_f64 v[60:61], v[68:69], -v[64:65]
	v_add_f64 v[64:65], v[74:75], -v[78:79]
	v_add_f64 v[10:11], v[70:71], v[114:115]
	v_add_f64 v[74:75], v[98:99], v[110:111]
	v_add_f64 v[42:43], v[80:81], -v[76:77]
	v_add_f64 v[46:47], v[82:83], -v[62:63]
	v_add_f64 v[50:51], v[72:73], v[66:67]
	v_add_f64 v[54:55], v[66:67], -v[72:73]
	v_add_f64 v[62:63], v[62:63], v[82:83]
	v_add_f64 v[66:67], v[76:77], v[80:81]
	;; [unrolled: 1-line block ×6, first 2 shown]
	v_add_f64 v[72:73], v[96:97], -v[116:117]
	v_add_f64 v[78:79], v[98:99], -v[110:111]
	v_add_f64 v[84:85], v[104:105], v[108:109]
	v_add_f64 v[96:97], v[76:77], v[68:69]
	v_add_f64 v[98:99], v[74:75], -v[10:11]
	v_add_f64 v[10:11], v[10:11], -v[82:83]
	;; [unrolled: 1-line block ×3, first 2 shown]
	v_add_f64 v[82:83], v[82:83], v[90:91]
	v_add_f64 v[70:71], v[70:71], -v[114:115]
	v_add_f64 v[80:81], v[100:101], -v[112:113]
	;; [unrolled: 1-line block ×7, first 2 shown]
	v_add_f64 v[84:85], v[84:85], v[96:97]
	v_add_f64 v[56:57], v[56:57], v[82:83]
	;; [unrolled: 1-line block ×4, first 2 shown]
	v_add_f64 v[106:107], v[86:87], -v[78:79]
	v_add_f64 v[108:109], v[88:89], -v[80:81]
	;; [unrolled: 1-line block ×4, first 2 shown]
	v_add_f64 v[58:59], v[58:59], v[84:85]
	v_mov_b64_e32 v[110:111], v[56:57]
	v_add_f64 v[86:87], v[70:71], -v[86:87]
	v_add_f64 v[88:89], v[72:73], -v[88:89]
	v_add_f64 v[70:71], v[102:103], v[70:71]
	v_add_f64 v[72:73], v[104:105], v[72:73]
	v_mul_f64 v[10:11], v[10:11], s[14:15]
	v_mul_f64 v[68:69], v[68:69], s[14:15]
	;; [unrolled: 1-line block ×8, first 2 shown]
	v_fmac_f64_e32 v[110:111], s[26:27], v[82:83]
	v_mov_b64_e32 v[82:83], v[58:59]
	v_fmac_f64_e32 v[82:83], s[26:27], v[84:85]
	v_fma_f64 v[84:85], v[98:99], s[6:7], -v[90:91]
	v_fma_f64 v[90:91], v[100:101], s[6:7], -v[96:97]
	;; [unrolled: 1-line block ×3, first 2 shown]
	v_fmac_f64_e32 v[10:11], s[16:17], v[74:75]
	v_fma_f64 v[74:75], v[100:101], s[20:21], -v[68:69]
	v_fmac_f64_e32 v[68:69], s[16:17], v[76:77]
	v_fma_f64 v[98:99], v[78:79], s[0:1], -v[102:103]
	;; [unrolled: 2-line block ×4, first 2 shown]
	v_fma_f64 v[88:89], v[88:89], s[24:25], -v[108:109]
	v_add_f64 v[10:11], v[10:11], v[110:111]
	v_add_f64 v[100:101], v[68:69], v[82:83]
	;; [unrolled: 1-line block ×6, first 2 shown]
	v_fmac_f64_e32 v[102:103], s[22:23], v[70:71]
	v_fmac_f64_e32 v[104:105], s[22:23], v[72:73]
	;; [unrolled: 1-line block ×6, first 2 shown]
	v_add_f64 v[68:69], v[104:105], v[10:11]
	v_add_f64 v[70:71], v[100:101], -v[102:103]
	v_add_f64 v[72:73], v[88:89], v[96:97]
	v_add_f64 v[74:75], v[106:107], -v[86:87]
	v_add_f64 v[76:77], v[84:85], -v[80:81]
	v_add_f64 v[78:79], v[98:99], v[90:91]
	v_add_f64 v[80:81], v[80:81], v[84:85]
	v_add_f64 v[82:83], v[90:91], -v[98:99]
	v_add_f64 v[84:85], v[96:97], -v[88:89]
	v_add_f64 v[86:87], v[86:87], v[106:107]
	v_add_f64 v[88:89], v[10:11], -v[104:105]
	v_add_f64 v[90:91], v[102:103], v[100:101]
	s_barrier
	ds_write_b128 v95, v[36:39]
	ds_write_b128 v95, v[40:43] offset:864
	ds_write_b128 v95, v[44:47] offset:1728
	;; [unrolled: 1-line block ×6, first 2 shown]
	ds_write_b128 v8, v[56:59]
	ds_write_b128 v8, v[68:71] offset:864
	ds_write_b128 v8, v[72:75] offset:1728
	;; [unrolled: 1-line block ×6, first 2 shown]
	s_and_saveexec_b64 s[30:31], s[2:3]
	s_cbranch_execz .LBB0_21
; %bb.20:
	v_accvgpr_read_b32 v60, a120
	v_accvgpr_read_b32 v78, a124
	;; [unrolled: 1-line block ×34, first 2 shown]
	v_mul_f64 v[8:9], v[62:63], v[30:31]
	v_accvgpr_read_b32 v79, a125
	v_accvgpr_read_b32 v109, a155
	v_mul_f64 v[36:37], v[80:81], v[110:111]
	v_accvgpr_read_b32 v71, a109
	v_accvgpr_read_b32 v101, a147
	;; [unrolled: 3-line block ×5, first 2 shown]
	v_mul_f64 v[48:49], v[84:85], v[106:107]
	v_fmac_f64_e32 v[8:9], v[60:61], v[28:29]
	v_fmac_f64_e32 v[36:37], v[78:79], v[108:109]
	;; [unrolled: 1-line block ×6, first 2 shown]
	v_add_f64 v[38:39], v[8:9], -v[36:37]
	v_add_f64 v[10:11], v[40:41], -v[42:43]
	;; [unrolled: 1-line block ×5, first 2 shown]
	v_add_f64 v[10:11], v[10:11], v[50:51]
	v_add_f64 v[56:57], v[10:11], v[38:39]
	v_mul_f64 v[10:11], v[80:81], v[108:109]
	v_fma_f64 v[58:59], v[78:79], v[110:111], -v[10:11]
	v_mul_f64 v[10:11], v[62:63], v[28:29]
	v_add_f64 v[36:37], v[8:9], v[36:37]
	v_add_f64 v[46:47], v[46:47], v[48:49]
	v_fma_f64 v[28:29], v[60:61], v[30:31], -v[10:11]
	v_mul_f64 v[10:11], v[84:85], v[104:105]
	v_add_f64 v[8:9], v[46:47], v[36:37]
	v_add_f64 v[40:41], v[42:43], v[40:41]
	v_fma_f64 v[62:63], v[82:83], v[106:107], -v[10:11]
	v_mul_f64 v[10:11], v[66:67], v[86:87]
	v_mul_f64 v[30:31], v[76:77], v[96:97]
	v_add_f64 v[42:43], v[40:41], v[8:9]
	v_fma_f64 v[64:65], v[64:65], v[88:89], -v[10:11]
	v_fma_f64 v[68:69], v[74:75], v[98:99], -v[30:31]
	v_mul_f64 v[30:31], v[72:73], v[100:101]
	v_add_f64 v[8:9], v[32:33], v[42:43]
	v_add_f64 v[32:33], v[36:37], -v[40:41]
	v_add_f64 v[60:61], v[28:29], v[58:59]
	v_add_f64 v[66:67], v[64:65], v[62:63]
	v_fma_f64 v[70:71], v[70:71], v[102:103], -v[30:31]
	v_mov_b64_e32 v[48:49], v[8:9]
	v_mul_f64 v[32:33], v[32:33], s[14:15]
	v_add_f64 v[40:41], v[40:41], -v[46:47]
	v_add_f64 v[10:11], v[66:67], v[60:61]
	v_add_f64 v[30:31], v[68:69], v[70:71]
	v_fmac_f64_e32 v[48:49], s[26:27], v[42:43]
	v_mul_f64 v[42:43], v[40:41], s[16:17]
	v_fma_f64 v[40:41], s[16:17], v[40:41], v[32:33]
	v_add_f64 v[72:73], v[30:31], v[10:11]
	v_add_f64 v[78:79], v[40:41], v[48:49]
	v_add_f64 v[40:41], v[28:29], -v[58:59]
	v_add_f64 v[28:29], v[70:71], -v[68:69]
	;; [unrolled: 1-line block ×3, first 2 shown]
	v_add_f64 v[10:11], v[34:35], v[72:73]
	v_add_f64 v[58:59], v[40:41], -v[28:29]
	v_add_f64 v[64:65], v[28:29], -v[62:63]
	v_add_f64 v[28:29], v[28:29], v[62:63]
	v_add_f64 v[38:39], v[50:51], -v[38:39]
	v_add_f64 v[36:37], v[46:47], -v[36:37]
	v_mul_f64 v[52:53], v[52:53], s[18:19]
	v_mov_b64_e32 v[74:75], v[10:11]
	v_add_f64 v[34:35], v[60:61], -v[30:31]
	v_add_f64 v[30:31], v[30:31], -v[66:67]
	v_add_f64 v[70:71], v[28:29], v[40:41]
	v_mul_f64 v[50:51], v[38:39], s[0:1]
	v_fma_f64 v[32:33], v[36:37], s[20:21], -v[32:33]
	v_add_f64 v[40:41], v[62:63], -v[40:41]
	v_fma_f64 v[54:55], s[28:29], v[44:45], v[52:53]
	v_fmac_f64_e32 v[74:75], s[26:27], v[72:73]
	v_mul_f64 v[34:35], v[34:35], s[14:15]
	v_mul_f64 v[72:73], v[30:31], s[16:17]
	;; [unrolled: 1-line block ×3, first 2 shown]
	v_fma_f64 v[44:45], v[44:45], s[24:25], -v[50:51]
	v_add_f64 v[50:51], v[66:67], -v[60:61]
	v_add_f64 v[66:67], v[32:33], v[48:49]
	v_mul_f64 v[32:33], v[40:41], s[0:1]
	v_fma_f64 v[30:31], s[16:17], v[30:31], v[34:35]
	v_fma_f64 v[68:69], s[28:29], v[58:59], v[64:65]
	v_fma_f64 v[34:35], v[50:51], s[20:21], -v[34:35]
	v_fma_f64 v[58:59], v[58:59], s[24:25], -v[32:33]
	;; [unrolled: 1-line block ×6, first 2 shown]
	v_fmac_f64_e32 v[54:55], s[22:23], v[56:57]
	v_add_f64 v[76:77], v[30:31], v[74:75]
	v_fmac_f64_e32 v[68:69], s[22:23], v[70:71]
	v_fmac_f64_e32 v[44:45], s[22:23], v[56:57]
	v_add_f64 v[60:61], v[34:35], v[74:75]
	v_fmac_f64_e32 v[58:59], s[22:23], v[70:71]
	v_add_f64 v[46:47], v[46:47], v[74:75]
	;; [unrolled: 2-line block ×3, first 2 shown]
	v_fmac_f64_e32 v[40:41], s[22:23], v[70:71]
	v_accvgpr_read_b32 v52, a136
	v_add_f64 v[30:31], v[54:55], v[76:77]
	v_add_f64 v[28:29], v[78:79], -v[68:69]
	v_add_f64 v[34:35], v[44:45], v[60:61]
	v_add_f64 v[32:33], v[66:67], -v[58:59]
	v_add_f64 v[38:39], v[46:47], -v[50:51]
	v_add_f64 v[36:37], v[40:41], v[48:49]
	v_add_f64 v[42:43], v[50:51], v[46:47]
	v_add_f64 v[40:41], v[48:49], -v[40:41]
	v_add_f64 v[46:47], v[60:61], -v[44:45]
	v_add_f64 v[44:45], v[58:59], v[66:67]
	v_add_f64 v[50:51], v[76:77], -v[54:55]
	v_add_f64 v[48:49], v[68:69], v[78:79]
	ds_write_b128 v52, v[8:11] offset:24192
	ds_write_b128 v52, v[48:51] offset:25056
	ds_write_b128 v52, v[44:47] offset:25920
	ds_write_b128 v52, v[40:43] offset:26784
	ds_write_b128 v52, v[36:39] offset:27648
	ds_write_b128 v52, v[32:35] offset:28512
	ds_write_b128 v52, v[28:31] offset:29376
.LBB0_21:
	s_or_b64 exec, exec, s[30:31]
	s_waitcnt lgkmcnt(0)
	s_barrier
	ds_read_b128 v[8:11], v94
	ds_read_b128 v[28:31], v94 offset:2016
	ds_read_b128 v[42:45], v94 offset:12096
	;; [unrolled: 1-line block ×14, first 2 shown]
	s_waitcnt lgkmcnt(8)
	v_mul_f64 v[90:91], v[218:219], v[60:61]
	v_fmac_f64_e32 v[90:91], v[216:217], v[58:59]
	v_mul_f64 v[58:59], v[218:219], v[58:59]
	v_fma_f64 v[58:59], v[216:217], v[60:61], -v[58:59]
	v_mul_f64 v[60:61], v[234:235], v[44:45]
	v_fmac_f64_e32 v[60:61], v[232:233], v[42:43]
	v_mul_f64 v[42:43], v[234:235], v[42:43]
	v_fma_f64 v[96:97], v[232:233], v[44:45], -v[42:43]
	s_waitcnt lgkmcnt(4)
	v_mul_f64 v[98:99], v[226:227], v[72:73]
	v_mul_f64 v[42:43], v[226:227], v[70:71]
	v_fmac_f64_e32 v[98:99], v[224:225], v[70:71]
	v_fma_f64 v[70:71], v[224:225], v[72:73], -v[42:43]
	v_mul_f64 v[72:73], v[222:223], v[52:53]
	v_mul_f64 v[42:43], v[222:223], v[50:51]
	s_waitcnt lgkmcnt(2)
	v_mul_f64 v[106:107], v[2:3], v[80:81]
	v_mul_f64 v[2:3], v[2:3], v[78:79]
	v_fmac_f64_e32 v[72:73], v[220:221], v[50:51]
	v_fma_f64 v[50:51], v[220:221], v[52:53], -v[42:43]
	v_mul_f64 v[42:43], v[246:247], v[62:63]
	v_fmac_f64_e32 v[106:107], v[0:1], v[78:79]
	v_fma_f64 v[78:79], v[0:1], v[80:81], -v[2:3]
	v_mul_f64 v[0:1], v[254:255], v[54:55]
	v_mul_f64 v[100:101], v[246:247], v[64:65]
	v_fma_f64 v[102:103], v[244:245], v[64:65], -v[42:43]
	v_mul_f64 v[64:65], v[6:7], v[48:49]
	v_fma_f64 v[108:109], v[252:253], v[56:57], -v[0:1]
	v_mul_f64 v[0:1], v[14:15], v[66:67]
	v_fmac_f64_e32 v[64:65], v[4:5], v[46:47]
	v_mul_f64 v[6:7], v[6:7], v[46:47]
	v_fma_f64 v[42:43], v[12:13], v[68:69], -v[0:1]
	v_mul_f64 v[46:47], v[26:27], v[76:77]
	v_mul_f64 v[0:1], v[26:27], v[74:75]
	v_fmac_f64_e32 v[46:47], v[24:25], v[74:75]
	v_fma_f64 v[24:25], v[24:25], v[76:77], -v[0:1]
	s_waitcnt lgkmcnt(1)
	v_mul_f64 v[26:27], v[22:23], v[84:85]
	v_mul_f64 v[0:1], v[22:23], v[82:83]
	v_fmac_f64_e32 v[26:27], v[20:21], v[82:83]
	v_fma_f64 v[20:21], v[20:21], v[84:85], -v[0:1]
	s_waitcnt lgkmcnt(0)
	v_mul_f64 v[0:1], v[18:19], v[86:87]
	v_fma_f64 v[22:23], v[16:17], v[88:89], -v[0:1]
	v_add_f64 v[0:1], v[8:9], v[90:91]
	v_add_f64 v[0:1], v[0:1], v[60:61]
	v_accvgpr_read_b32 v110, a50
	v_add_f64 v[0:1], v[0:1], v[98:99]
	v_mad_u64_u32 v[38:39], s[0:1], s10, v110, 0
	v_fma_f64 v[104:105], v[4:5], v[48:49], -v[6:7]
	v_add_f64 v[4:5], v[0:1], v[72:73]
	v_add_f64 v[0:1], v[60:61], v[98:99]
	s_mov_b32 s2, 0x134454ff
	v_mov_b32_e32 v36, s12
	v_mov_b32_e32 v37, s13
	v_mul_f64 v[44:45], v[14:15], v[68:69]
	v_mul_f64 v[48:49], v[18:19], v[88:89]
	v_fma_f64 v[0:1], -0.5, v[0:1], v[8:9]
	v_add_f64 v[2:3], v[58:59], -v[50:51]
	s_mov_b32 s3, 0xbfee6f0e
	s_mov_b32 s0, 0x4755a5e
	s_mov_b32 s13, 0x3fee6f0e
	s_mov_b32 s12, s2
	v_fmac_f64_e32 v[44:45], v[12:13], v[66:67]
	v_fmac_f64_e32 v[48:49], v[16:17], v[86:87]
	v_fma_f64 v[12:13], s[2:3], v[2:3], v[0:1]
	v_add_f64 v[6:7], v[96:97], -v[70:71]
	s_mov_b32 s1, 0xbfe2cf23
	v_add_f64 v[14:15], v[90:91], -v[60:61]
	v_add_f64 v[16:17], v[72:73], -v[98:99]
	s_mov_b32 s6, 0x372fe950
	v_fmac_f64_e32 v[0:1], s[12:13], v[2:3]
	s_mov_b32 s15, 0x3fe2cf23
	s_mov_b32 s14, s0
	v_fmac_f64_e32 v[12:13], s[0:1], v[6:7]
	v_add_f64 v[14:15], v[14:15], v[16:17]
	s_mov_b32 s7, 0x3fd3c6ef
	v_fmac_f64_e32 v[0:1], s[14:15], v[6:7]
	v_fmac_f64_e32 v[12:13], s[6:7], v[14:15]
	;; [unrolled: 1-line block ×3, first 2 shown]
	v_add_f64 v[14:15], v[90:91], v[72:73]
	v_fmac_f64_e32 v[8:9], -0.5, v[14:15]
	v_fma_f64 v[16:17], s[12:13], v[6:7], v[8:9]
	v_fmac_f64_e32 v[8:9], s[2:3], v[6:7]
	v_fmac_f64_e32 v[16:17], s[0:1], v[2:3]
	;; [unrolled: 1-line block ×3, first 2 shown]
	v_add_f64 v[2:3], v[10:11], v[58:59]
	v_add_f64 v[2:3], v[2:3], v[96:97]
	v_add_f64 v[2:3], v[2:3], v[70:71]
	v_add_f64 v[14:15], v[60:61], -v[90:91]
	v_add_f64 v[18:19], v[98:99], -v[72:73]
	v_add_f64 v[6:7], v[2:3], v[50:51]
	v_add_f64 v[2:3], v[96:97], v[70:71]
	v_mul_f64 v[80:81], v[254:255], v[56:57]
	v_add_f64 v[14:15], v[14:15], v[18:19]
	v_fma_f64 v[2:3], -0.5, v[2:3], v[10:11]
	v_add_f64 v[52:53], v[90:91], -v[72:73]
	v_fmac_f64_e32 v[80:81], v[252:253], v[54:55]
	v_fmac_f64_e32 v[16:17], s[6:7], v[14:15]
	;; [unrolled: 1-line block ×3, first 2 shown]
	v_fma_f64 v[14:15], s[12:13], v[52:53], v[2:3]
	v_add_f64 v[54:55], v[60:61], -v[98:99]
	v_add_f64 v[18:19], v[58:59], -v[96:97]
	;; [unrolled: 1-line block ×3, first 2 shown]
	v_fmac_f64_e32 v[2:3], s[2:3], v[52:53]
	v_fmac_f64_e32 v[14:15], s[14:15], v[54:55]
	v_add_f64 v[18:19], v[18:19], v[56:57]
	v_fmac_f64_e32 v[2:3], s[0:1], v[54:55]
	v_fmac_f64_e32 v[14:15], s[6:7], v[18:19]
	;; [unrolled: 1-line block ×3, first 2 shown]
	v_add_f64 v[18:19], v[58:59], v[50:51]
	v_fmac_f64_e32 v[10:11], -0.5, v[18:19]
	v_fma_f64 v[18:19], s[2:3], v[54:55], v[10:11]
	v_fmac_f64_e32 v[10:11], s[12:13], v[54:55]
	v_fmac_f64_e32 v[18:19], s[14:15], v[52:53]
	v_fmac_f64_e32 v[10:11], s[0:1], v[52:53]
	v_add_f64 v[52:53], v[64:65], v[106:107]
	v_fmac_f64_e32 v[100:101], v[244:245], v[62:63]
	v_add_f64 v[56:57], v[96:97], -v[58:59]
	v_add_f64 v[50:51], v[70:71], -v[50:51]
	v_fma_f64 v[54:55], -0.5, v[52:53], v[28:29]
	v_add_f64 v[52:53], v[102:103], -v[108:109]
	v_add_f64 v[50:51], v[56:57], v[50:51]
	v_fma_f64 v[58:59], s[2:3], v[52:53], v[54:55]
	v_add_f64 v[56:57], v[104:105], -v[78:79]
	v_add_f64 v[60:61], v[100:101], -v[64:65]
	;; [unrolled: 1-line block ×3, first 2 shown]
	v_fmac_f64_e32 v[54:55], s[12:13], v[52:53]
	v_fmac_f64_e32 v[58:59], s[0:1], v[56:57]
	v_add_f64 v[60:61], v[60:61], v[62:63]
	v_fmac_f64_e32 v[54:55], s[14:15], v[56:57]
	v_fmac_f64_e32 v[58:59], s[6:7], v[60:61]
	;; [unrolled: 1-line block ×3, first 2 shown]
	v_add_f64 v[60:61], v[100:101], v[80:81]
	v_fmac_f64_e32 v[18:19], s[6:7], v[50:51]
	v_fmac_f64_e32 v[10:11], s[6:7], v[50:51]
	v_add_f64 v[50:51], v[28:29], v[100:101]
	v_fmac_f64_e32 v[28:29], -0.5, v[60:61]
	v_fma_f64 v[62:63], s[12:13], v[56:57], v[28:29]
	v_add_f64 v[60:61], v[64:65], -v[100:101]
	v_add_f64 v[66:67], v[106:107], -v[80:81]
	v_fmac_f64_e32 v[28:29], s[2:3], v[56:57]
	v_add_f64 v[56:57], v[104:105], v[78:79]
	v_fmac_f64_e32 v[62:63], s[0:1], v[52:53]
	v_add_f64 v[60:61], v[60:61], v[66:67]
	v_fmac_f64_e32 v[28:29], s[14:15], v[52:53]
	v_fma_f64 v[56:57], -0.5, v[56:57], v[30:31]
	v_add_f64 v[66:67], v[100:101], -v[80:81]
	v_add_f64 v[50:51], v[50:51], v[64:65]
	v_fmac_f64_e32 v[62:63], s[6:7], v[60:61]
	v_fmac_f64_e32 v[28:29], s[6:7], v[60:61]
	v_fma_f64 v[60:61], s[12:13], v[66:67], v[56:57]
	v_add_f64 v[68:69], v[64:65], -v[106:107]
	v_add_f64 v[64:65], v[102:103], -v[104:105]
	;; [unrolled: 1-line block ×3, first 2 shown]
	v_fmac_f64_e32 v[56:57], s[2:3], v[66:67]
	v_fmac_f64_e32 v[60:61], s[14:15], v[68:69]
	v_add_f64 v[64:65], v[64:65], v[70:71]
	v_fmac_f64_e32 v[56:57], s[0:1], v[68:69]
	v_fmac_f64_e32 v[60:61], s[6:7], v[64:65]
	;; [unrolled: 1-line block ×3, first 2 shown]
	v_add_f64 v[64:65], v[102:103], v[108:109]
	v_add_f64 v[52:53], v[30:31], v[102:103]
	v_fmac_f64_e32 v[30:31], -0.5, v[64:65]
	v_fma_f64 v[64:65], s[2:3], v[68:69], v[30:31]
	v_add_f64 v[70:71], v[104:105], -v[102:103]
	v_add_f64 v[72:73], v[78:79], -v[108:109]
	v_fmac_f64_e32 v[30:31], s[12:13], v[68:69]
	v_fmac_f64_e32 v[64:65], s[14:15], v[66:67]
	v_add_f64 v[70:71], v[70:71], v[72:73]
	v_fmac_f64_e32 v[30:31], s[0:1], v[66:67]
	v_add_f64 v[68:69], v[46:47], v[26:27]
	v_add_f64 v[52:53], v[52:53], v[104:105]
	v_fmac_f64_e32 v[64:65], s[6:7], v[70:71]
	v_fmac_f64_e32 v[30:31], s[6:7], v[70:71]
	v_fma_f64 v[70:71], -0.5, v[68:69], v[32:33]
	v_add_f64 v[68:69], v[42:43], -v[22:23]
	v_add_f64 v[52:53], v[52:53], v[78:79]
	v_fma_f64 v[74:75], s[2:3], v[68:69], v[70:71]
	v_add_f64 v[72:73], v[24:25], -v[20:21]
	v_add_f64 v[76:77], v[44:45], -v[46:47]
	;; [unrolled: 1-line block ×3, first 2 shown]
	v_fmac_f64_e32 v[70:71], s[12:13], v[68:69]
	v_fmac_f64_e32 v[74:75], s[0:1], v[72:73]
	v_add_f64 v[76:77], v[76:77], v[78:79]
	v_fmac_f64_e32 v[70:71], s[14:15], v[72:73]
	v_fmac_f64_e32 v[74:75], s[6:7], v[76:77]
	;; [unrolled: 1-line block ×3, first 2 shown]
	v_add_f64 v[76:77], v[44:45], v[48:49]
	v_add_f64 v[50:51], v[50:51], v[106:107]
	v_add_f64 v[66:67], v[32:33], v[44:45]
	v_fmac_f64_e32 v[32:33], -0.5, v[76:77]
	v_add_f64 v[50:51], v[50:51], v[80:81]
	v_add_f64 v[66:67], v[66:67], v[46:47]
	v_fma_f64 v[78:79], s[12:13], v[72:73], v[32:33]
	v_add_f64 v[76:77], v[46:47], -v[44:45]
	v_add_f64 v[80:81], v[26:27], -v[48:49]
	v_fmac_f64_e32 v[32:33], s[2:3], v[72:73]
	v_add_f64 v[72:73], v[24:25], v[20:21]
	v_add_f64 v[66:67], v[66:67], v[26:27]
	v_fmac_f64_e32 v[78:79], s[0:1], v[68:69]
	v_add_f64 v[76:77], v[76:77], v[80:81]
	v_fmac_f64_e32 v[32:33], s[14:15], v[68:69]
	v_fma_f64 v[72:73], -0.5, v[72:73], v[34:35]
	v_add_f64 v[44:45], v[44:45], -v[48:49]
	v_add_f64 v[66:67], v[66:67], v[48:49]
	v_fmac_f64_e32 v[78:79], s[6:7], v[76:77]
	v_fmac_f64_e32 v[32:33], s[6:7], v[76:77]
	v_fma_f64 v[76:77], s[12:13], v[44:45], v[72:73]
	v_add_f64 v[26:27], v[46:47], -v[26:27]
	v_add_f64 v[46:47], v[42:43], -v[24:25]
	;; [unrolled: 1-line block ×3, first 2 shown]
	v_fmac_f64_e32 v[72:73], s[2:3], v[44:45]
	v_fmac_f64_e32 v[76:77], s[14:15], v[26:27]
	v_add_f64 v[46:47], v[46:47], v[48:49]
	v_fmac_f64_e32 v[72:73], s[0:1], v[26:27]
	v_add_f64 v[68:69], v[34:35], v[42:43]
	v_fmac_f64_e32 v[76:77], s[6:7], v[46:47]
	v_fmac_f64_e32 v[72:73], s[6:7], v[46:47]
	v_add_f64 v[46:47], v[42:43], v[22:23]
	v_add_f64 v[68:69], v[68:69], v[24:25]
	v_fmac_f64_e32 v[34:35], -0.5, v[46:47]
	v_add_f64 v[68:69], v[68:69], v[20:21]
	v_fma_f64 v[80:81], s[2:3], v[26:27], v[34:35]
	v_add_f64 v[24:25], v[24:25], -v[42:43]
	v_add_f64 v[20:21], v[20:21], -v[22:23]
	v_fmac_f64_e32 v[34:35], s[12:13], v[26:27]
	v_fmac_f64_e32 v[80:81], s[14:15], v[44:45]
	v_add_f64 v[20:21], v[24:25], v[20:21]
	v_fmac_f64_e32 v[34:35], s[0:1], v[44:45]
	v_add_f64 v[52:53], v[52:53], v[108:109]
	v_add_f64 v[68:69], v[68:69], v[22:23]
	v_fmac_f64_e32 v[80:81], s[6:7], v[20:21]
	v_fmac_f64_e32 v[34:35], s[6:7], v[20:21]
	ds_write_b128 v94, v[4:7]
	ds_write_b128 v94, v[12:15] offset:6048
	ds_write_b128 v94, v[16:19] offset:12096
	;; [unrolled: 1-line block ×14, first 2 shown]
	s_waitcnt lgkmcnt(0)
	s_barrier
	ds_read_b128 v[0:3], v94
	v_mov_b32_e32 v40, v39
	v_accvgpr_read_b32 v10, a56
	v_mad_u64_u32 v[4:5], s[0:1], s11, v110, v[40:41]
	v_accvgpr_read_b32 v12, a58
	v_accvgpr_read_b32 v13, a59
	v_mov_b32_e32 v39, v4
	ds_read_b128 v[4:7], v94 offset:2016
	v_accvgpr_read_b32 v11, a57
	s_waitcnt lgkmcnt(1)
	v_mul_f64 v[8:9], v[12:13], v[2:3]
	v_fmac_f64_e32 v[8:9], v[10:11], v[0:1]
	v_mul_f64 v[0:1], v[12:13], v[0:1]
	s_mov_b32 s0, 0xbc011567
	v_fma_f64 v[0:1], v[10:11], v[2:3], -v[0:1]
	v_accvgpr_read_b32 v2, a24
	s_mov_b32 s1, 0x3f41566a
	v_mad_u64_u32 v[12:13], s[2:3], s8, v2, 0
	v_mul_f64 v[10:11], v[0:1], s[0:1]
	v_mov_b32_e32 v0, v13
	v_mad_u64_u32 v[0:1], s[2:3], s9, v2, v[0:1]
	v_mov_b32_e32 v13, v0
	ds_read_b128 v[0:3], v94 offset:15120
	v_lshl_add_u64 v[14:15], v[38:39], 4, v[36:37]
	v_accvgpr_read_b32 v21, a3
	v_mul_f64 v[8:9], v[8:9], s[0:1]
	v_lshl_add_u64 v[16:17], v[12:13], 4, v[14:15]
	v_accvgpr_read_b32 v20, a2
	global_store_dwordx4 v[16:17], v[8:11], off
	ds_read_b128 v[8:11], v94 offset:12096
	v_accvgpr_read_b32 v19, a1
	v_accvgpr_read_b32 v18, a0
	s_waitcnt lgkmcnt(1)
	v_mul_f64 v[12:13], v[20:21], v[2:3]
	s_mul_i32 s2, s9, 0x3b1
	s_mul_hi_u32 s3, s8, 0x3b1
	v_fmac_f64_e32 v[12:13], v[18:19], v[0:1]
	v_mul_f64 v[0:1], v[20:21], v[0:1]
	s_add_i32 s3, s3, s2
	s_mul_i32 s2, s8, 0x3b1
	v_fma_f64 v[0:1], v[18:19], v[2:3], -v[0:1]
	s_lshl_b64 s[10:11], s[2:3], 4
	v_mul_f64 v[12:13], v[12:13], s[0:1]
	v_mul_f64 v[14:15], v[0:1], s[0:1]
	v_lshl_add_u64 v[16:17], v[16:17], 0, s[10:11]
	global_store_dwordx4 v[16:17], v[12:15], off
	s_mul_hi_u32 s7, s8, 0xfffffccd
	s_mul_i32 s6, s9, 0xfffffccd
	v_accvgpr_read_b32 v15, a7
	v_accvgpr_read_b32 v14, a6
	;; [unrolled: 1-line block ×4, first 2 shown]
	v_mul_f64 v[0:1], v[14:15], v[6:7]
	v_mul_f64 v[2:3], v[14:15], v[4:5]
	v_fmac_f64_e32 v[0:1], v[12:13], v[4:5]
	v_fma_f64 v[2:3], v[12:13], v[6:7], -v[2:3]
	ds_read_b128 v[4:7], v94 offset:17136
	s_sub_i32 s7, s7, s8
	s_add_i32 s7, s7, s6
	s_mul_i32 s6, s8, 0xfffffccd
	s_lshl_b64 s[8:9], s[6:7], 4
	v_accvgpr_read_b32 v21, a19
	v_mul_f64 v[0:1], v[0:1], s[0:1]
	v_mul_f64 v[2:3], v[2:3], s[0:1]
	v_lshl_add_u64 v[16:17], v[16:17], 0, s[8:9]
	v_accvgpr_read_b32 v20, a18
	global_store_dwordx4 v[16:17], v[0:3], off
	ds_read_b128 v[0:3], v94 offset:19152
	v_accvgpr_read_b32 v19, a17
	v_accvgpr_read_b32 v18, a16
	s_waitcnt lgkmcnt(1)
	v_mul_f64 v[12:13], v[20:21], v[6:7]
	v_fmac_f64_e32 v[12:13], v[18:19], v[4:5]
	v_mul_f64 v[4:5], v[20:21], v[4:5]
	v_fma_f64 v[14:15], v[18:19], v[6:7], -v[4:5]
	ds_read_b128 v[4:7], v94 offset:4032
	v_accvgpr_read_b32 v25, a11
	v_mul_f64 v[12:13], v[12:13], s[0:1]
	v_mul_f64 v[14:15], v[14:15], s[0:1]
	v_lshl_add_u64 v[20:21], v[16:17], 0, s[10:11]
	v_accvgpr_read_b32 v24, a10
	global_store_dwordx4 v[20:21], v[12:15], off
	ds_read_b128 v[12:15], v94 offset:6048
	v_accvgpr_read_b32 v23, a9
	v_accvgpr_read_b32 v22, a8
	s_waitcnt lgkmcnt(1)
	v_mul_f64 v[16:17], v[24:25], v[6:7]
	v_fmac_f64_e32 v[16:17], v[22:23], v[4:5]
	v_mul_f64 v[4:5], v[24:25], v[4:5]
	v_fma_f64 v[4:5], v[22:23], v[6:7], -v[4:5]
	v_mul_f64 v[16:17], v[16:17], s[0:1]
	v_mul_f64 v[18:19], v[4:5], s[0:1]
	v_lshl_add_u64 v[20:21], v[20:21], 0, s[8:9]
	global_store_dwordx4 v[20:21], v[16:19], off
	v_accvgpr_read_b32 v22, a30
	v_accvgpr_read_b32 v24, a32
	;; [unrolled: 1-line block ×6, first 2 shown]
	v_mul_f64 v[4:5], v[18:19], v[2:3]
	v_fmac_f64_e32 v[4:5], v[16:17], v[0:1]
	v_mul_f64 v[0:1], v[18:19], v[0:1]
	v_fma_f64 v[0:1], v[16:17], v[2:3], -v[0:1]
	v_mul_f64 v[4:5], v[4:5], s[0:1]
	v_mul_f64 v[6:7], v[0:1], s[0:1]
	v_lshl_add_u64 v[16:17], v[20:21], 0, s[10:11]
	global_store_dwordx4 v[16:17], v[4:7], off
	v_accvgpr_read_b32 v18, a26
	v_lshl_add_u64 v[16:17], v[16:17], 0, s[8:9]
	v_accvgpr_read_b32 v4, a20
	v_accvgpr_read_b32 v6, a22
	;; [unrolled: 1-line block ×4, first 2 shown]
	s_waitcnt lgkmcnt(0)
	v_mul_f64 v[0:1], v[6:7], v[14:15]
	v_mul_f64 v[2:3], v[6:7], v[12:13]
	v_fmac_f64_e32 v[0:1], v[4:5], v[12:13]
	v_fma_f64 v[2:3], v[4:5], v[14:15], -v[2:3]
	ds_read_b128 v[4:7], v94 offset:21168
	v_mul_f64 v[0:1], v[0:1], s[0:1]
	v_mul_f64 v[2:3], v[2:3], s[0:1]
	v_accvgpr_read_b32 v20, a28
	v_accvgpr_read_b32 v21, a29
	global_store_dwordx4 v[16:17], v[0:3], off
	ds_read_b128 v[0:3], v94 offset:23184
	v_accvgpr_read_b32 v19, a27
	s_waitcnt lgkmcnt(1)
	v_mul_f64 v[12:13], v[20:21], v[6:7]
	v_fmac_f64_e32 v[12:13], v[18:19], v[4:5]
	v_mul_f64 v[4:5], v[20:21], v[4:5]
	v_fma_f64 v[14:15], v[18:19], v[6:7], -v[4:5]
	ds_read_b128 v[4:7], v94 offset:8064
	v_mul_f64 v[12:13], v[12:13], s[0:1]
	v_mul_f64 v[14:15], v[14:15], s[0:1]
	v_lshl_add_u64 v[20:21], v[16:17], 0, s[10:11]
	v_accvgpr_read_b32 v25, a33
	global_store_dwordx4 v[20:21], v[12:15], off
	ds_read_b128 v[12:15], v94 offset:10080
	v_accvgpr_read_b32 v23, a31
	s_waitcnt lgkmcnt(1)
	v_mul_f64 v[16:17], v[24:25], v[6:7]
	v_fmac_f64_e32 v[16:17], v[22:23], v[4:5]
	v_mul_f64 v[4:5], v[24:25], v[4:5]
	v_fma_f64 v[4:5], v[22:23], v[6:7], -v[4:5]
	v_mul_f64 v[16:17], v[16:17], s[0:1]
	v_mul_f64 v[18:19], v[4:5], s[0:1]
	v_lshl_add_u64 v[20:21], v[20:21], 0, s[8:9]
	global_store_dwordx4 v[20:21], v[16:19], off
	s_nop 1
	v_accvgpr_read_b32 v16, a34
	v_accvgpr_read_b32 v18, a36
	;; [unrolled: 1-line block ×4, first 2 shown]
	v_mul_f64 v[4:5], v[18:19], v[2:3]
	v_fmac_f64_e32 v[4:5], v[16:17], v[0:1]
	v_mul_f64 v[0:1], v[18:19], v[0:1]
	v_fma_f64 v[0:1], v[16:17], v[2:3], -v[0:1]
	v_mul_f64 v[4:5], v[4:5], s[0:1]
	v_mul_f64 v[6:7], v[0:1], s[0:1]
	v_lshl_add_u64 v[16:17], v[20:21], 0, s[10:11]
	global_store_dwordx4 v[16:17], v[4:7], off
	v_accvgpr_read_b32 v18, a42
	v_lshl_add_u64 v[16:17], v[16:17], 0, s[8:9]
	v_accvgpr_read_b32 v4, a38
	v_accvgpr_read_b32 v6, a40
	;; [unrolled: 1-line block ×4, first 2 shown]
	s_waitcnt lgkmcnt(0)
	v_mul_f64 v[0:1], v[6:7], v[14:15]
	v_mul_f64 v[2:3], v[6:7], v[12:13]
	v_fmac_f64_e32 v[0:1], v[4:5], v[12:13]
	v_fma_f64 v[2:3], v[4:5], v[14:15], -v[2:3]
	ds_read_b128 v[4:7], v94 offset:25200
	v_mul_f64 v[0:1], v[0:1], s[0:1]
	v_mul_f64 v[2:3], v[2:3], s[0:1]
	v_accvgpr_read_b32 v20, a44
	v_accvgpr_read_b32 v21, a45
	global_store_dwordx4 v[16:17], v[0:3], off
	ds_read_b128 v[0:3], v94 offset:27216
	v_accvgpr_read_b32 v19, a43
	s_waitcnt lgkmcnt(1)
	v_mul_f64 v[12:13], v[20:21], v[6:7]
	v_fmac_f64_e32 v[12:13], v[18:19], v[4:5]
	v_mul_f64 v[4:5], v[20:21], v[4:5]
	v_fma_f64 v[4:5], v[18:19], v[6:7], -v[4:5]
	v_mul_f64 v[12:13], v[12:13], s[0:1]
	v_mul_f64 v[14:15], v[4:5], s[0:1]
	v_lshl_add_u64 v[16:17], v[16:17], 0, s[10:11]
	global_store_dwordx4 v[16:17], v[12:15], off
	s_nop 1
	v_accvgpr_read_b32 v12, a46
	v_accvgpr_read_b32 v14, a48
	;; [unrolled: 1-line block ×4, first 2 shown]
	v_mul_f64 v[4:5], v[14:15], v[10:11]
	v_mul_f64 v[6:7], v[14:15], v[8:9]
	v_fmac_f64_e32 v[4:5], v[12:13], v[8:9]
	v_fma_f64 v[6:7], v[12:13], v[10:11], -v[6:7]
	v_accvgpr_read_b32 v10, a52
	v_mul_f64 v[4:5], v[4:5], s[0:1]
	v_mul_f64 v[6:7], v[6:7], s[0:1]
	v_lshl_add_u64 v[8:9], v[16:17], 0, s[8:9]
	v_accvgpr_read_b32 v12, a54
	v_accvgpr_read_b32 v13, a55
	global_store_dwordx4 v[8:9], v[4:7], off
	v_accvgpr_read_b32 v11, a53
	s_waitcnt lgkmcnt(0)
	v_mul_f64 v[4:5], v[12:13], v[2:3]
	v_fmac_f64_e32 v[4:5], v[10:11], v[0:1]
	v_mul_f64 v[0:1], v[12:13], v[0:1]
	v_fma_f64 v[0:1], v[10:11], v[2:3], -v[0:1]
	v_mul_f64 v[4:5], v[4:5], s[0:1]
	v_mul_f64 v[6:7], v[0:1], s[0:1]
	v_lshl_add_u64 v[0:1], v[8:9], 0, s[10:11]
	global_store_dwordx4 v[0:1], v[4:7], off
	s_and_b64 exec, exec, s[4:5]
	s_cbranch_execz .LBB0_23
; %bb.22:
	v_add_co_u32_e32 v2, vcc, 0x3000, v92
	v_lshl_add_u64 v[14:15], s[6:7], 4, v[0:1]
	s_nop 0
	v_addc_co_u32_e32 v3, vcc, 0, v93, vcc
	global_load_dwordx4 v[2:5], v[2:3], off offset:1824
	ds_read_b128 v[6:9], v94 offset:14112
	ds_read_b128 v[10:13], v94 offset:29232
	s_movk_i32 s4, 0x7000
	v_add_co_u32_e32 v16, vcc, s4, v92
	s_waitcnt vmcnt(0) lgkmcnt(1)
	v_mul_f64 v[0:1], v[8:9], v[4:5]
	v_mul_f64 v[4:5], v[6:7], v[4:5]
	v_fmac_f64_e32 v[0:1], v[6:7], v[2:3]
	v_fma_f64 v[2:3], v[2:3], v[8:9], -v[4:5]
	v_mul_f64 v[0:1], v[0:1], s[0:1]
	v_mul_f64 v[2:3], v[2:3], s[0:1]
	v_addc_co_u32_e32 v17, vcc, 0, v93, vcc
	global_store_dwordx4 v[14:15], v[0:3], off
	global_load_dwordx4 v[0:3], v[16:17], off offset:560
	s_waitcnt vmcnt(0) lgkmcnt(0)
	v_mul_f64 v[4:5], v[12:13], v[2:3]
	v_mul_f64 v[2:3], v[10:11], v[2:3]
	v_fmac_f64_e32 v[4:5], v[10:11], v[0:1]
	v_fma_f64 v[2:3], v[0:1], v[12:13], -v[2:3]
	v_mul_f64 v[0:1], v[4:5], s[0:1]
	v_mul_f64 v[2:3], v[2:3], s[0:1]
	v_lshl_add_u64 v[4:5], s[2:3], 4, v[14:15]
	global_store_dwordx4 v[4:5], v[0:3], off
.LBB0_23:
	s_endpgm
	.section	.rodata,"a",@progbits
	.p2align	6, 0x0
	.amdhsa_kernel bluestein_single_back_len1890_dim1_dp_op_CI_CI
		.amdhsa_group_segment_fixed_size 30240
		.amdhsa_private_segment_fixed_size 0
		.amdhsa_kernarg_size 104
		.amdhsa_user_sgpr_count 2
		.amdhsa_user_sgpr_dispatch_ptr 0
		.amdhsa_user_sgpr_queue_ptr 0
		.amdhsa_user_sgpr_kernarg_segment_ptr 1
		.amdhsa_user_sgpr_dispatch_id 0
		.amdhsa_user_sgpr_kernarg_preload_length 0
		.amdhsa_user_sgpr_kernarg_preload_offset 0
		.amdhsa_user_sgpr_private_segment_size 0
		.amdhsa_uses_dynamic_stack 0
		.amdhsa_enable_private_segment 0
		.amdhsa_system_sgpr_workgroup_id_x 1
		.amdhsa_system_sgpr_workgroup_id_y 0
		.amdhsa_system_sgpr_workgroup_id_z 0
		.amdhsa_system_sgpr_workgroup_info 0
		.amdhsa_system_vgpr_workitem_id 0
		.amdhsa_next_free_vgpr 414
		.amdhsa_next_free_sgpr 36
		.amdhsa_accum_offset 256
		.amdhsa_reserve_vcc 1
		.amdhsa_float_round_mode_32 0
		.amdhsa_float_round_mode_16_64 0
		.amdhsa_float_denorm_mode_32 3
		.amdhsa_float_denorm_mode_16_64 3
		.amdhsa_dx10_clamp 1
		.amdhsa_ieee_mode 1
		.amdhsa_fp16_overflow 0
		.amdhsa_tg_split 0
		.amdhsa_exception_fp_ieee_invalid_op 0
		.amdhsa_exception_fp_denorm_src 0
		.amdhsa_exception_fp_ieee_div_zero 0
		.amdhsa_exception_fp_ieee_overflow 0
		.amdhsa_exception_fp_ieee_underflow 0
		.amdhsa_exception_fp_ieee_inexact 0
		.amdhsa_exception_int_div_zero 0
	.end_amdhsa_kernel
	.text
.Lfunc_end0:
	.size	bluestein_single_back_len1890_dim1_dp_op_CI_CI, .Lfunc_end0-bluestein_single_back_len1890_dim1_dp_op_CI_CI
                                        ; -- End function
	.section	.AMDGPU.csdata,"",@progbits
; Kernel info:
; codeLenInByte = 24524
; NumSgprs: 42
; NumVgprs: 256
; NumAgprs: 158
; TotalNumVgprs: 414
; ScratchSize: 0
; MemoryBound: 0
; FloatMode: 240
; IeeeMode: 1
; LDSByteSize: 30240 bytes/workgroup (compile time only)
; SGPRBlocks: 5
; VGPRBlocks: 51
; NumSGPRsForWavesPerEU: 42
; NumVGPRsForWavesPerEU: 414
; AccumOffset: 256
; Occupancy: 1
; WaveLimiterHint : 1
; COMPUTE_PGM_RSRC2:SCRATCH_EN: 0
; COMPUTE_PGM_RSRC2:USER_SGPR: 2
; COMPUTE_PGM_RSRC2:TRAP_HANDLER: 0
; COMPUTE_PGM_RSRC2:TGID_X_EN: 1
; COMPUTE_PGM_RSRC2:TGID_Y_EN: 0
; COMPUTE_PGM_RSRC2:TGID_Z_EN: 0
; COMPUTE_PGM_RSRC2:TIDIG_COMP_CNT: 0
; COMPUTE_PGM_RSRC3_GFX90A:ACCUM_OFFSET: 63
; COMPUTE_PGM_RSRC3_GFX90A:TG_SPLIT: 0
	.text
	.p2alignl 6, 3212836864
	.fill 256, 4, 3212836864
	.type	__hip_cuid_ff242908f1f65667,@object ; @__hip_cuid_ff242908f1f65667
	.section	.bss,"aw",@nobits
	.globl	__hip_cuid_ff242908f1f65667
__hip_cuid_ff242908f1f65667:
	.byte	0                               ; 0x0
	.size	__hip_cuid_ff242908f1f65667, 1

	.ident	"AMD clang version 19.0.0git (https://github.com/RadeonOpenCompute/llvm-project roc-6.4.0 25133 c7fe45cf4b819c5991fe208aaa96edf142730f1d)"
	.section	".note.GNU-stack","",@progbits
	.addrsig
	.addrsig_sym __hip_cuid_ff242908f1f65667
	.amdgpu_metadata
---
amdhsa.kernels:
  - .agpr_count:     158
    .args:
      - .actual_access:  read_only
        .address_space:  global
        .offset:         0
        .size:           8
        .value_kind:     global_buffer
      - .actual_access:  read_only
        .address_space:  global
        .offset:         8
        .size:           8
        .value_kind:     global_buffer
      - .actual_access:  read_only
        .address_space:  global
        .offset:         16
        .size:           8
        .value_kind:     global_buffer
      - .actual_access:  read_only
        .address_space:  global
        .offset:         24
        .size:           8
        .value_kind:     global_buffer
      - .actual_access:  read_only
        .address_space:  global
        .offset:         32
        .size:           8
        .value_kind:     global_buffer
      - .offset:         40
        .size:           8
        .value_kind:     by_value
      - .address_space:  global
        .offset:         48
        .size:           8
        .value_kind:     global_buffer
      - .address_space:  global
        .offset:         56
        .size:           8
        .value_kind:     global_buffer
      - .address_space:  global
        .offset:         64
        .size:           8
        .value_kind:     global_buffer
      - .address_space:  global
        .offset:         72
        .size:           8
        .value_kind:     global_buffer
      - .offset:         80
        .size:           4
        .value_kind:     by_value
      - .address_space:  global
        .offset:         88
        .size:           8
        .value_kind:     global_buffer
      - .address_space:  global
        .offset:         96
        .size:           8
        .value_kind:     global_buffer
    .group_segment_fixed_size: 30240
    .kernarg_segment_align: 8
    .kernarg_segment_size: 104
    .language:       OpenCL C
    .language_version:
      - 2
      - 0
    .max_flat_workgroup_size: 126
    .name:           bluestein_single_back_len1890_dim1_dp_op_CI_CI
    .private_segment_fixed_size: 0
    .sgpr_count:     42
    .sgpr_spill_count: 0
    .symbol:         bluestein_single_back_len1890_dim1_dp_op_CI_CI.kd
    .uniform_work_group_size: 1
    .uses_dynamic_stack: false
    .vgpr_count:     414
    .vgpr_spill_count: 0
    .wavefront_size: 64
amdhsa.target:   amdgcn-amd-amdhsa--gfx950
amdhsa.version:
  - 1
  - 2
...

	.end_amdgpu_metadata
